;; amdgpu-corpus repo=ROCm/rocFFT kind=compiled arch=gfx950 opt=O3
	.text
	.amdgcn_target "amdgcn-amd-amdhsa--gfx950"
	.amdhsa_code_object_version 6
	.protected	fft_rtc_fwd_len357_factors_17_3_7_wgs_187_tpt_17_halfLds_sp_op_CI_CI_sbrr_dirReg ; -- Begin function fft_rtc_fwd_len357_factors_17_3_7_wgs_187_tpt_17_halfLds_sp_op_CI_CI_sbrr_dirReg
	.globl	fft_rtc_fwd_len357_factors_17_3_7_wgs_187_tpt_17_halfLds_sp_op_CI_CI_sbrr_dirReg
	.p2align	8
	.type	fft_rtc_fwd_len357_factors_17_3_7_wgs_187_tpt_17_halfLds_sp_op_CI_CI_sbrr_dirReg,@function
fft_rtc_fwd_len357_factors_17_3_7_wgs_187_tpt_17_halfLds_sp_op_CI_CI_sbrr_dirReg: ; @fft_rtc_fwd_len357_factors_17_3_7_wgs_187_tpt_17_halfLds_sp_op_CI_CI_sbrr_dirReg
; %bb.0:
	s_load_dwordx4 s[12:15], s[0:1], 0x18
	s_load_dwordx4 s[8:11], s[0:1], 0x0
	;; [unrolled: 1-line block ×3, first 2 shown]
                                        ; implicit-def: $vgpr202 : SGPR spill to VGPR lane
	v_mul_u32_u24_e32 v1, 0xf10, v0
	v_lshrrev_b32_e32 v2, 16, v1
	v_mad_u64_u32 v[68:69], s[2:3], s2, 11, v[2:3]
	s_waitcnt lgkmcnt(0)
	v_writelane_b32 v202, s4, 0
	v_mov_b32_e32 v2, 0
	v_mov_b32_e32 v69, v2
	v_writelane_b32 v202, s5, 1
	v_writelane_b32 v202, s6, 2
	;; [unrolled: 1-line block ×3, first 2 shown]
	s_load_dwordx2 s[4:5], s[12:13], 0x0
	s_load_dwordx2 s[6:7], s[14:15], 0x0
	v_mov_b64_e32 v[76:77], 0
	v_mov_b64_e32 v[24:25], v[76:77]
	;; [unrolled: 1-line block ×3, first 2 shown]
	s_waitcnt lgkmcnt(0)
	v_writelane_b32 v202, s6, 4
	s_nop 1
	v_writelane_b32 v202, s7, 5
	v_writelane_b32 v202, s8, 6
	s_nop 1
	v_writelane_b32 v202, s9, 7
	v_cmp_lt_u64_e64 s[2:3], s[10:11], 2
	v_writelane_b32 v202, s10, 8
	s_and_b64 vcc, exec, s[2:3]
	v_writelane_b32 v202, s11, 9
	s_cbranch_vccnz .LBB0_8
; %bb.1:
	s_load_dwordx2 s[2:3], s[0:1], 0x10
	s_add_u32 s6, s14, 8
	s_addc_u32 s7, s15, 0
	s_add_u32 s8, s12, 8
	s_addc_u32 s9, s13, 0
	s_waitcnt lgkmcnt(0)
	s_add_u32 s10, s2, 8
	v_mov_b64_e32 v[76:77], 0
	s_addc_u32 s11, s3, 0
	s_mov_b64 s[16:17], 1
	v_mov_b64_e32 v[24:25], v[76:77]
	v_mov_b64_e32 v[4:5], v[68:69]
.LBB0_2:                                ; =>This Inner Loop Header: Depth=1
	s_load_dwordx2 s[18:19], s[10:11], 0x0
                                        ; implicit-def: $vgpr26_vgpr27
	s_waitcnt lgkmcnt(0)
	v_or_b32_e32 v3, s19, v5
	v_cmp_ne_u64_e32 vcc, 0, v[2:3]
	s_and_saveexec_b64 s[2:3], vcc
	s_xor_b64 s[20:21], exec, s[2:3]
	s_cbranch_execz .LBB0_4
; %bb.3:                                ;   in Loop: Header=BB0_2 Depth=1
	v_cvt_f32_u32_e32 v1, s18
	v_cvt_f32_u32_e32 v3, s19
	s_sub_u32 s2, 0, s18
	s_subb_u32 s3, 0, s19
	v_fmac_f32_e32 v1, 0x4f800000, v3
	v_rcp_f32_e32 v1, v1
	s_nop 0
	v_mul_f32_e32 v1, 0x5f7ffffc, v1
	v_mul_f32_e32 v3, 0x2f800000, v1
	v_trunc_f32_e32 v3, v3
	v_fmac_f32_e32 v1, 0xcf800000, v3
	v_cvt_u32_f32_e32 v3, v3
	v_cvt_u32_f32_e32 v1, v1
	v_mul_lo_u32 v6, s2, v3
	v_mul_hi_u32 v8, s2, v1
	v_mul_lo_u32 v7, s3, v1
	v_add_u32_e32 v8, v8, v6
	v_mul_lo_u32 v10, s2, v1
	v_add_u32_e32 v11, v8, v7
	v_mul_hi_u32 v6, v1, v10
	v_mul_hi_u32 v9, v1, v11
	v_mul_lo_u32 v8, v1, v11
	v_mov_b32_e32 v7, v2
	v_lshl_add_u64 v[6:7], v[6:7], 0, v[8:9]
	v_mul_hi_u32 v9, v3, v10
	v_mul_lo_u32 v10, v3, v10
	v_add_co_u32_e32 v6, vcc, v6, v10
	v_mul_hi_u32 v8, v3, v11
	s_nop 0
	v_addc_co_u32_e32 v6, vcc, v7, v9, vcc
	v_mov_b32_e32 v7, v2
	s_nop 0
	v_addc_co_u32_e32 v9, vcc, 0, v8, vcc
	v_mul_lo_u32 v8, v3, v11
	v_lshl_add_u64 v[6:7], v[6:7], 0, v[8:9]
	v_add_co_u32_e32 v1, vcc, v1, v6
	v_mul_lo_u32 v8, s2, v1
	s_nop 0
	v_addc_co_u32_e32 v3, vcc, v3, v7, vcc
	v_mul_lo_u32 v6, s2, v3
	v_mul_hi_u32 v7, s2, v1
	v_add_u32_e32 v6, v7, v6
	v_mul_lo_u32 v7, s3, v1
	v_add_u32_e32 v10, v6, v7
	v_mul_hi_u32 v12, v3, v8
	v_mul_lo_u32 v13, v3, v8
	v_mul_hi_u32 v7, v1, v10
	v_mul_lo_u32 v6, v1, v10
	v_mul_hi_u32 v8, v1, v8
	v_mov_b32_e32 v9, v2
	v_lshl_add_u64 v[6:7], v[8:9], 0, v[6:7]
	v_add_co_u32_e32 v6, vcc, v6, v13
	v_mul_hi_u32 v11, v3, v10
	s_nop 0
	v_addc_co_u32_e32 v6, vcc, v7, v12, vcc
	v_mul_lo_u32 v8, v3, v10
	s_nop 0
	v_addc_co_u32_e32 v9, vcc, 0, v11, vcc
	v_mov_b32_e32 v7, v2
	v_lshl_add_u64 v[6:7], v[6:7], 0, v[8:9]
	v_add_co_u32_e32 v1, vcc, v1, v6
	v_mul_hi_u32 v8, v4, v1
	s_nop 0
	v_addc_co_u32_e32 v3, vcc, v3, v7, vcc
	v_mad_u64_u32 v[6:7], s[2:3], v4, v3, 0
	v_mov_b32_e32 v9, v2
	v_lshl_add_u64 v[6:7], v[8:9], 0, v[6:7]
	v_mad_u64_u32 v[10:11], s[2:3], v5, v1, 0
	v_add_co_u32_e32 v1, vcc, v6, v10
	v_mad_u64_u32 v[8:9], s[2:3], v5, v3, 0
	s_nop 0
	v_addc_co_u32_e32 v6, vcc, v7, v11, vcc
	v_mov_b32_e32 v7, v2
	s_nop 0
	v_addc_co_u32_e32 v9, vcc, 0, v9, vcc
	v_lshl_add_u64 v[6:7], v[6:7], 0, v[8:9]
	v_mul_lo_u32 v1, s19, v6
	v_mul_lo_u32 v3, s18, v7
	v_mad_u64_u32 v[8:9], s[2:3], s18, v6, 0
	v_add3_u32 v1, v9, v3, v1
	v_sub_u32_e32 v3, v5, v1
	v_mov_b32_e32 v9, s19
	v_sub_co_u32_e32 v12, vcc, v4, v8
	v_lshl_add_u64 v[10:11], v[6:7], 0, 1
	s_nop 0
	v_subb_co_u32_e64 v3, s[2:3], v3, v9, vcc
	v_subrev_co_u32_e64 v8, s[2:3], s18, v12
	v_subb_co_u32_e32 v1, vcc, v5, v1, vcc
	s_nop 0
	v_subbrev_co_u32_e64 v3, s[2:3], 0, v3, s[2:3]
	v_cmp_le_u32_e64 s[2:3], s19, v3
	v_cmp_le_u32_e32 vcc, s19, v1
	s_nop 0
	v_cndmask_b32_e64 v9, 0, -1, s[2:3]
	v_cmp_le_u32_e64 s[2:3], s18, v8
	s_nop 1
	v_cndmask_b32_e64 v8, 0, -1, s[2:3]
	v_cmp_eq_u32_e64 s[2:3], s19, v3
	s_nop 1
	v_cndmask_b32_e64 v3, v9, v8, s[2:3]
	v_lshl_add_u64 v[8:9], v[6:7], 0, 2
	v_cmp_ne_u32_e64 s[2:3], 0, v3
	s_nop 1
	v_cndmask_b32_e64 v3, v11, v9, s[2:3]
	v_cndmask_b32_e64 v9, 0, -1, vcc
	v_cmp_le_u32_e32 vcc, s18, v12
	s_nop 1
	v_cndmask_b32_e64 v11, 0, -1, vcc
	v_cmp_eq_u32_e32 vcc, s19, v1
	s_nop 1
	v_cndmask_b32_e32 v1, v9, v11, vcc
	v_cmp_ne_u32_e32 vcc, 0, v1
	v_cndmask_b32_e64 v1, v10, v8, s[2:3]
	s_nop 0
	v_cndmask_b32_e32 v27, v7, v3, vcc
	v_cndmask_b32_e32 v26, v6, v1, vcc
.LBB0_4:                                ;   in Loop: Header=BB0_2 Depth=1
	s_andn2_saveexec_b64 s[2:3], s[20:21]
	s_cbranch_execz .LBB0_6
; %bb.5:                                ;   in Loop: Header=BB0_2 Depth=1
	v_cvt_f32_u32_e32 v1, s18
	s_sub_i32 s20, 0, s18
	v_mov_b32_e32 v27, v2
	v_rcp_iflag_f32_e32 v1, v1
	s_nop 0
	v_mul_f32_e32 v1, 0x4f7ffffe, v1
	v_cvt_u32_f32_e32 v1, v1
	v_mul_lo_u32 v3, s20, v1
	v_mul_hi_u32 v3, v1, v3
	v_add_u32_e32 v1, v1, v3
	v_mul_hi_u32 v1, v4, v1
	v_mul_lo_u32 v3, v1, s18
	v_sub_u32_e32 v3, v4, v3
	v_add_u32_e32 v6, 1, v1
	v_subrev_u32_e32 v7, s18, v3
	v_cmp_le_u32_e32 vcc, s18, v3
	s_nop 1
	v_cndmask_b32_e32 v3, v3, v7, vcc
	v_cndmask_b32_e32 v1, v1, v6, vcc
	v_add_u32_e32 v6, 1, v1
	v_cmp_le_u32_e32 vcc, s18, v3
	s_nop 1
	v_cndmask_b32_e32 v26, v1, v6, vcc
.LBB0_6:                                ;   in Loop: Header=BB0_2 Depth=1
	s_or_b64 exec, exec, s[2:3]
	v_mad_u64_u32 v[6:7], s[2:3], v26, s18, 0
	s_load_dwordx2 s[2:3], s[8:9], 0x0
	v_mul_lo_u32 v1, v27, s18
	v_mul_lo_u32 v3, v26, s19
	s_load_dwordx2 s[18:19], s[6:7], 0x0
	s_add_u32 s16, s16, 1
	s_load_dwordx4 s[20:23], s[0:1], 0x0
	v_add3_u32 v1, v7, v3, v1
	v_sub_co_u32_e32 v3, vcc, v4, v6
	s_addc_u32 s17, s17, 0
	s_nop 0
	v_subb_co_u32_e32 v1, vcc, v5, v1, vcc
	s_add_u32 s6, s6, 8
	s_waitcnt lgkmcnt(0)
	v_mul_lo_u32 v4, s2, v1
	v_mul_lo_u32 v5, s3, v3
	v_mad_u64_u32 v[76:77], s[2:3], s2, v3, v[76:77]
	s_addc_u32 s7, s7, 0
	v_add3_u32 v77, v5, v77, v4
	v_mul_lo_u32 v1, s18, v1
	v_mul_lo_u32 v4, s19, v3
	v_mad_u64_u32 v[24:25], s[2:3], s18, v3, v[24:25]
	s_add_u32 s8, s8, 8
	v_add3_u32 v25, v4, v25, v1
	s_addc_u32 s9, s9, 0
	v_mov_b64_e32 v[4:5], s[22:23]
	s_add_u32 s10, s10, 8
	v_cmp_ge_u64_e32 vcc, s[16:17], v[4:5]
	s_addc_u32 s11, s11, 0
	s_cbranch_vccnz .LBB0_8
; %bb.7:                                ;   in Loop: Header=BB0_2 Depth=1
	v_mov_b64_e32 v[4:5], v[26:27]
	s_branch .LBB0_2
.LBB0_8:
	s_load_dwordx2 s[0:1], s[0:1], 0x28
	v_readlane_b32 s8, v202, 6
	v_readlane_b32 s10, v202, 8
	;; [unrolled: 1-line block ×3, first 2 shown]
	s_lshl_b64 s[6:7], s[10:11], 3
	v_readlane_b32 s9, v202, 7
	s_add_u32 s8, s14, s6
	s_waitcnt lgkmcnt(0)
	v_cmp_gt_u64_e64 s[2:3], s[0:1], v[26:27]
	s_addc_u32 s9, s15, s7
	v_cmp_le_u64_e64 s[0:1], s[0:1], v[26:27]
	v_writelane_b32 v202, s2, 10
                                        ; implicit-def: $sgpr10
                                        ; implicit-def: $vgpr124
	s_nop 1
	v_writelane_b32 v202, s3, 11
	s_and_saveexec_b64 s[2:3], s[0:1]
	s_xor_b64 s[0:1], exec, s[2:3]
; %bb.9:
	s_mov_b32 s2, 0xf0f0f10
	v_mul_hi_u32 v1, v0, s2
	v_mul_u32_u24_e32 v1, 17, v1
	v_sub_u32_e32 v124, v0, v1
	s_mov_b32 s10, 0
                                        ; implicit-def: $vgpr0
                                        ; implicit-def: $vgpr76_vgpr77
; %bb.10:
	s_or_saveexec_b64 s[2:3], s[0:1]
	s_load_dwordx2 s[0:1], s[8:9], 0x0
	v_mov_b32_e32 v3, s10
	v_mov_b32_e32 v2, s10
                                        ; implicit-def: $vgpr1
                                        ; implicit-def: $vgpr64
                                        ; implicit-def: $vgpr10
                                        ; implicit-def: $vgpr22
                                        ; implicit-def: $vgpr8
                                        ; implicit-def: $vgpr28
                                        ; implicit-def: $vgpr6
                                        ; implicit-def: $vgpr30
                                        ; implicit-def: $vgpr20
                                        ; implicit-def: $vgpr32
                                        ; implicit-def: $vgpr18
                                        ; implicit-def: $vgpr34
                                        ; implicit-def: $vgpr16
                                        ; implicit-def: $vgpr36
                                        ; implicit-def: $vgpr14
                                        ; implicit-def: $vgpr74
                                        ; implicit-def: $vgpr48
                                        ; implicit-def: $vgpr50
                                        ; implicit-def: $vgpr42
                                        ; implicit-def: $vgpr4
                                        ; implicit-def: $vgpr12
                                        ; implicit-def: $vgpr73
                                        ; implicit-def: $vgpr55
                                        ; implicit-def: $vgpr56
                                        ; implicit-def: $vgpr66
                                        ; implicit-def: $vgpr58
                                        ; implicit-def: $vgpr60
                                        ; implicit-def: $vgpr62
                                        ; implicit-def: $vgpr70
                                        ; implicit-def: $vgpr40
                                        ; implicit-def: $vgpr38
                                        ; implicit-def: $vgpr44
                                        ; implicit-def: $vgpr52
                                        ; implicit-def: $vgpr46
	s_waitcnt lgkmcnt(0)
	v_writelane_b32 v202, s0, 12
	s_nop 1
	v_writelane_b32 v202, s1, 13
	s_xor_b64 exec, exec, s[2:3]
	s_cbranch_execz .LBB0_14
; %bb.11:
	s_add_u32 s0, s12, s6
	s_addc_u32 s1, s13, s7
	s_load_dwordx2 s[0:1], s[0:1], 0x0
	s_mov_b32 s6, 0xf0f0f10
	v_readlane_b32 s8, v202, 0
	v_readlane_b32 s9, v202, 1
	;; [unrolled: 1-line block ×3, first 2 shown]
	s_waitcnt lgkmcnt(0)
	v_mul_lo_u32 v1, s1, v26
	v_mul_lo_u32 v4, s0, v27
	v_mad_u64_u32 v[2:3], s[0:1], s0, v26, 0
	v_add3_u32 v3, v3, v4, v1
	v_mul_hi_u32 v1, v0, s6
	v_mul_u32_u24_e32 v1, 17, v1
	v_sub_u32_e32 v124, v0, v1
	v_mad_u64_u32 v[0:1], s[0:1], s4, v124, 0
	v_mov_b32_e32 v4, v1
	v_mad_u64_u32 v[4:5], s[0:1], s5, v124, v[4:5]
	v_lshl_add_u64 v[2:3], v[2:3], 3, s[8:9]
	v_add_u32_e32 v5, 21, v124
	v_lshl_add_u64 v[64:65], v[76:77], 3, v[2:3]
	v_mad_u64_u32 v[2:3], s[0:1], s4, v5, 0
	v_mov_b32_e32 v1, v4
	v_mov_b32_e32 v4, v3
	v_mad_u64_u32 v[4:5], s[0:1], s5, v5, v[4:5]
	v_add_u32_e32 v7, 42, v124
	v_mov_b32_e32 v3, v4
	v_mad_u64_u32 v[4:5], s[0:1], s4, v7, 0
	v_mov_b32_e32 v6, v5
	v_mad_u64_u32 v[6:7], s[0:1], s5, v7, v[6:7]
	v_add_u32_e32 v9, 63, v124
	v_mov_b32_e32 v5, v6
	v_mad_u64_u32 v[6:7], s[0:1], s4, v9, 0
	v_mov_b32_e32 v8, v7
	v_mad_u64_u32 v[8:9], s[0:1], s5, v9, v[8:9]
	v_lshl_add_u64 v[0:1], v[0:1], 3, v[64:65]
	v_lshl_add_u64 v[2:3], v[2:3], 3, v[64:65]
	v_mov_b32_e32 v7, v8
	v_lshl_add_u64 v[4:5], v[4:5], 3, v[64:65]
	v_lshl_add_u64 v[6:7], v[6:7], 3, v[64:65]
	global_load_dwordx2 v[70:71], v[0:1], off
	global_load_dwordx2 v[54:55], v[2:3], off
	global_load_dwordx2 v[56:57], v[4:5], off
	global_load_dwordx2 v[66:67], v[6:7], off
	v_add_u32_e32 v3, 0x54, v124
	v_mad_u64_u32 v[0:1], s[0:1], s4, v3, 0
	v_mov_b32_e32 v2, v1
	v_mad_u64_u32 v[2:3], s[0:1], s5, v3, v[2:3]
	v_add_u32_e32 v5, 0x69, v124
	v_mov_b32_e32 v1, v2
	v_mad_u64_u32 v[2:3], s[0:1], s4, v5, 0
	v_mov_b32_e32 v4, v3
	v_mad_u64_u32 v[4:5], s[0:1], s5, v5, v[4:5]
	v_add_u32_e32 v7, 0x7e, v124
	v_mov_b32_e32 v3, v4
	v_mad_u64_u32 v[4:5], s[0:1], s4, v7, 0
	v_mov_b32_e32 v6, v5
	v_mad_u64_u32 v[6:7], s[0:1], s5, v7, v[6:7]
	v_add_u32_e32 v9, 0x93, v124
	v_mov_b32_e32 v5, v6
	v_mad_u64_u32 v[6:7], s[0:1], s4, v9, 0
	v_mov_b32_e32 v8, v7
	v_mad_u64_u32 v[8:9], s[0:1], s5, v9, v[8:9]
	v_lshl_add_u64 v[0:1], v[0:1], 3, v[64:65]
	v_lshl_add_u64 v[2:3], v[2:3], 3, v[64:65]
	v_mov_b32_e32 v7, v8
	v_lshl_add_u64 v[4:5], v[4:5], 3, v[64:65]
	v_lshl_add_u64 v[6:7], v[6:7], 3, v[64:65]
	global_load_dwordx2 v[58:59], v[0:1], off
	global_load_dwordx2 v[60:61], v[2:3], off
	global_load_dwordx2 v[62:63], v[4:5], off
	global_load_dwordx2 v[40:41], v[6:7], off
	v_add_u32_e32 v3, 0xa8, v124
	v_mad_u64_u32 v[0:1], s[0:1], s4, v3, 0
	v_mov_b32_e32 v2, v1
	v_mad_u64_u32 v[2:3], s[0:1], s5, v3, v[2:3]
	v_add_u32_e32 v5, 0xbd, v124
	v_mov_b32_e32 v1, v2
	v_mad_u64_u32 v[2:3], s[0:1], s4, v5, 0
	v_mov_b32_e32 v4, v3
	v_mad_u64_u32 v[4:5], s[0:1], s5, v5, v[4:5]
	v_add_u32_e32 v7, 0xd2, v124
	v_mov_b32_e32 v3, v4
	v_mad_u64_u32 v[4:5], s[0:1], s4, v7, 0
	v_mov_b32_e32 v6, v5
	v_mad_u64_u32 v[6:7], s[0:1], s5, v7, v[6:7]
	v_add_u32_e32 v9, 0xe7, v124
	v_mov_b32_e32 v5, v6
	v_mad_u64_u32 v[6:7], s[0:1], s4, v9, 0
	v_mov_b32_e32 v8, v7
	v_mad_u64_u32 v[8:9], s[0:1], s5, v9, v[8:9]
	v_lshl_add_u64 v[0:1], v[0:1], 3, v[64:65]
	v_lshl_add_u64 v[2:3], v[2:3], 3, v[64:65]
	v_mov_b32_e32 v7, v8
	v_lshl_add_u64 v[4:5], v[4:5], 3, v[64:65]
	v_lshl_add_u64 v[6:7], v[6:7], 3, v[64:65]
	global_load_dwordx2 v[38:39], v[0:1], off
	global_load_dwordx2 v[74:75], v[2:3], off
	global_load_dwordx2 v[42:43], v[4:5], off
	global_load_dwordx2 v[44:45], v[6:7], off
	v_add_u32_e32 v3, 0xfc, v124
	v_mad_u64_u32 v[0:1], s[0:1], s4, v3, 0
	v_mov_b32_e32 v2, v1
	v_mad_u64_u32 v[2:3], s[0:1], s5, v3, v[2:3]
	v_add_u32_e32 v5, 0x111, v124
	v_mov_b32_e32 v1, v2
	v_mad_u64_u32 v[2:3], s[0:1], s4, v5, 0
	v_mov_b32_e32 v4, v3
	v_mad_u64_u32 v[4:5], s[0:1], s5, v5, v[4:5]
	v_add_u32_e32 v7, 0x126, v124
	v_mov_b32_e32 v3, v4
	v_mad_u64_u32 v[4:5], s[0:1], s4, v7, 0
	v_mov_b32_e32 v6, v5
	v_mad_u64_u32 v[6:7], s[0:1], s5, v7, v[6:7]
	v_add_u32_e32 v9, 0x13b, v124
	v_mov_b32_e32 v5, v6
	v_mad_u64_u32 v[6:7], s[0:1], s4, v9, 0
	v_mov_b32_e32 v8, v7
	v_mad_u64_u32 v[8:9], s[0:1], s5, v9, v[8:9]
	v_lshl_add_u64 v[0:1], v[0:1], 3, v[64:65]
	v_lshl_add_u64 v[2:3], v[2:3], 3, v[64:65]
	v_mov_b32_e32 v7, v8
	v_lshl_add_u64 v[4:5], v[4:5], 3, v[64:65]
	v_lshl_add_u64 v[6:7], v[6:7], 3, v[64:65]
	global_load_dwordx2 v[50:51], v[0:1], off
	global_load_dwordx2 v[48:49], v[2:3], off
	;; [unrolled: 1-line block ×4, first 2 shown]
	v_add_u32_e32 v3, 0x150, v124
	v_mad_u64_u32 v[0:1], s[0:1], s4, v3, 0
	v_mov_b32_e32 v2, v1
	v_mad_u64_u32 v[2:3], s[0:1], s5, v3, v[2:3]
	v_mov_b32_e32 v1, v2
	v_lshl_add_u64 v[0:1], v[0:1], 3, v[64:65]
	global_load_dwordx2 v[76:77], v[0:1], off
	v_cmp_gt_u32_e64 s[0:1], 4, v124
	v_mov_b32_e32 v2, 0
	v_mov_b32_e32 v3, 0
	v_readlane_b32 s11, v202, 3
                                        ; implicit-def: $vgpr13
                                        ; implicit-def: $vgpr5
                                        ; implicit-def: $vgpr15
                                        ; implicit-def: $vgpr37
                                        ; implicit-def: $vgpr17
                                        ; implicit-def: $vgpr35
                                        ; implicit-def: $vgpr19
                                        ; implicit-def: $vgpr33
                                        ; implicit-def: $vgpr21
                                        ; implicit-def: $vgpr31
                                        ; implicit-def: $vgpr7
                                        ; implicit-def: $vgpr29
                                        ; implicit-def: $vgpr9
                                        ; implicit-def: $vgpr23
                                        ; implicit-def: $vgpr11
                                        ; implicit-def: $vgpr0
	s_and_saveexec_b64 s[6:7], s[0:1]
	s_cbranch_execz .LBB0_13
; %bb.12:
	v_add_u32_e32 v3, 17, v124
	v_mad_u64_u32 v[0:1], s[0:1], s4, v3, 0
	v_mov_b32_e32 v2, v1
	v_mad_u64_u32 v[2:3], s[0:1], s5, v3, v[2:3]
	v_add_u32_e32 v5, 38, v124
	v_mov_b32_e32 v1, v2
	v_mad_u64_u32 v[2:3], s[0:1], s4, v5, 0
	v_mov_b32_e32 v4, v3
	v_mad_u64_u32 v[4:5], s[0:1], s5, v5, v[4:5]
	v_mov_b32_e32 v3, v4
	v_lshl_add_u64 v[0:1], v[0:1], 3, v[64:65]
	v_lshl_add_u64 v[6:7], v[2:3], 3, v[64:65]
	global_load_dwordx2 v[2:3], v[0:1], off
	global_load_dwordx2 v[4:5], v[6:7], off
	v_add_u32_e32 v7, 59, v124
	v_mad_u64_u32 v[0:1], s[0:1], s4, v7, 0
	v_mov_b32_e32 v6, v1
	v_mad_u64_u32 v[6:7], s[0:1], s5, v7, v[6:7]
	v_mov_b32_e32 v1, v6
	v_or_b32_e32 v7, 0x50, v124
	v_lshl_add_u64 v[12:13], v[0:1], 3, v[64:65]
	v_mad_u64_u32 v[0:1], s[0:1], s4, v7, 0
	v_mov_b32_e32 v6, v1
	v_mad_u64_u32 v[6:7], s[0:1], s5, v7, v[6:7]
	v_mov_b32_e32 v1, v6
	v_add_u32_e32 v7, 0x65, v124
	v_lshl_add_u64 v[72:73], v[0:1], 3, v[64:65]
	v_mad_u64_u32 v[0:1], s[0:1], s4, v7, 0
	v_mov_b32_e32 v6, v1
	v_mad_u64_u32 v[6:7], s[0:1], s5, v7, v[6:7]
	v_mov_b32_e32 v1, v6
	v_add_u32_e32 v7, 0x7a, v124
	;; [unrolled: 6-line block ×3, first 2 shown]
	v_lshl_add_u64 v[16:17], v[0:1], 3, v[64:65]
	v_mad_u64_u32 v[0:1], s[0:1], s4, v7, 0
	v_mov_b32_e32 v6, v1
	v_mad_u64_u32 v[6:7], s[0:1], s5, v7, v[6:7]
	v_mov_b32_e32 v1, v6
	v_or_b32_e32 v7, 0xa4, v124
	v_lshl_add_u64 v[18:19], v[0:1], 3, v[64:65]
	v_mad_u64_u32 v[0:1], s[0:1], s4, v7, 0
	v_mov_b32_e32 v6, v1
	v_mad_u64_u32 v[6:7], s[0:1], s5, v7, v[6:7]
	v_mov_b32_e32 v1, v6
	v_add_u32_e32 v7, 0xb9, v124
	v_lshl_add_u64 v[20:21], v[0:1], 3, v[64:65]
	v_mad_u64_u32 v[0:1], s[0:1], s4, v7, 0
	v_mov_b32_e32 v6, v1
	v_mad_u64_u32 v[6:7], s[0:1], s5, v7, v[6:7]
	v_mov_b32_e32 v1, v6
	v_add_u32_e32 v7, 0xce, v124
	;; [unrolled: 6-line block ×3, first 2 shown]
	v_lshl_add_u64 v[28:29], v[0:1], 3, v[64:65]
	v_mad_u64_u32 v[0:1], s[0:1], s4, v7, 0
	v_mov_b32_e32 v6, v1
	v_mad_u64_u32 v[6:7], s[0:1], s5, v7, v[6:7]
	v_mov_b32_e32 v1, v6
	v_or_b32_e32 v7, 0xf8, v124
	v_lshl_add_u64 v[30:31], v[0:1], 3, v[64:65]
	v_mad_u64_u32 v[0:1], s[0:1], s4, v7, 0
	v_mov_b32_e32 v6, v1
	v_mad_u64_u32 v[6:7], s[0:1], s5, v7, v[6:7]
	v_mov_b32_e32 v1, v6
	v_lshl_add_u64 v[32:33], v[0:1], 3, v[64:65]
	global_load_dwordx2 v[10:11], v[22:23], off
	global_load_dwordx2 v[0:1], v[28:29], off
	;; [unrolled: 1-line block ×4, first 2 shown]
	v_add_u32_e32 v29, 0x10d, v124
	v_mad_u64_u32 v[22:23], s[0:1], s4, v29, 0
	v_mov_b32_e32 v28, v23
	v_mad_u64_u32 v[28:29], s[0:1], s5, v29, v[28:29]
	v_mov_b32_e32 v23, v28
	v_add_u32_e32 v29, 0x122, v124
	v_lshl_add_u64 v[78:79], v[22:23], 3, v[64:65]
	v_mad_u64_u32 v[22:23], s[0:1], s4, v29, 0
	v_mov_b32_e32 v28, v23
	v_mad_u64_u32 v[28:29], s[0:1], s5, v29, v[28:29]
	v_mov_b32_e32 v23, v28
	v_lshl_add_u64 v[80:81], v[22:23], 3, v[64:65]
	global_load_dwordx2 v[22:23], v[20:21], off
	global_load_dwordx2 v[28:29], v[18:19], off
	;; [unrolled: 1-line block ×4, first 2 shown]
	v_add_u32_e32 v17, 0x137, v124
	v_mad_u64_u32 v[14:15], s[0:1], s4, v17, 0
	v_mov_b32_e32 v16, v15
	v_mad_u64_u32 v[16:17], s[0:1], s5, v17, v[16:17]
	v_mov_b32_e32 v15, v16
	v_or_b32_e32 v17, 0x14c, v124
	v_lshl_add_u64 v[82:83], v[14:15], 3, v[64:65]
	v_mad_u64_u32 v[14:15], s[0:1], s4, v17, 0
	v_mov_b32_e32 v16, v15
	v_mad_u64_u32 v[16:17], s[0:1], s5, v17, v[16:17]
	v_mov_b32_e32 v15, v16
	v_add_u32_e32 v69, 0x161, v124
	v_lshl_add_u64 v[84:85], v[14:15], 3, v[64:65]
	global_load_dwordx2 v[34:35], v[72:73], off
	global_load_dwordx2 v[36:37], v[12:13], off
	;; [unrolled: 1-line block ×6, first 2 shown]
	v_mad_u64_u32 v[12:13], s[0:1], s4, v69, 0
	v_mov_b32_e32 v72, v13
	v_mad_u64_u32 v[72:73], s[0:1], s5, v69, v[72:73]
	v_mov_b32_e32 v13, v72
	v_lshl_add_u64 v[12:13], v[12:13], 3, v[64:65]
	global_load_dwordx2 v[12:13], v[12:13], off
.LBB0_13:
	s_or_b64 exec, exec, s[6:7]
	s_waitcnt vmcnt(7)
	v_mov_b32_e32 v64, v75
	v_mov_b32_e32 v65, v71
	v_mov_b32_e32 v75, v70
	v_mov_b32_e32 v73, v54
	v_mov_b32_e32 v70, v63
	s_waitcnt vmcnt(0)
	v_mov_b32_e32 v63, v76
	v_mov_b32_e32 v71, v77
.LBB0_14:
	s_or_b64 exec, exec, s[2:3]
	v_add_f32_e32 v72, v75, v73
	v_add_f32_e32 v72, v72, v56
	v_add_f32_e32 v72, v72, v66
	v_add_f32_e32 v72, v72, v58
	s_mov_b32 s82, 0xbf59a7d5
	v_add_f32_e32 v72, v72, v60
	s_mov_b32 s6, 0xbf1a4643
	s_mov_b32 s83, 0xbf06c442
	;; [unrolled: 1-line block ×3, first 2 shown]
	v_pk_add_f32 v[76:77], v[72:73], v[62:63]
	s_mov_b32 s42, s6
	s_mov_b32 s43, s82
	;; [unrolled: 1-line block ×3, first 2 shown]
	v_sub_f32_e32 v54, v55, v71
	s_mov_b32 s24, 0x3ee437d1
	s_mov_b32 s56, 0xbe8c1d8e
	;; [unrolled: 1-line block ×4, first 2 shown]
	v_pk_mul_f32 v[78:79], v[76:77], s[42:43] op_sel:[1,0]
	v_mul_hi_u32 v69, v68, s0
	s_mov_b32 s57, 0xbf763a35
	s_mov_b32 s20, 0x3f65296c
	s_mov_b32 s27, 0x3f763a35
	v_mov_b32_e32 v72, v75
	s_mov_b32 s0, s56
	s_mov_b32 s1, s24
	v_pk_fma_f32 v[80:81], v[54:55], s[34:35], v[78:79] op_sel_hi:[0,1,1]
	v_pk_add_f32 v[88:89], v[56:57], v[46:47]
	s_mov_b32 s36, s27
	s_mov_b32 s37, s20
	v_pk_add_f32 v[82:83], v[80:81], v[72:73] op_sel_hi:[1,0]
	v_pk_add_f32 v[80:81], v[56:57], v[46:47] neg_lo:[0,1] neg_hi:[0,1]
	v_writelane_b32 v202, s0, 14
	s_mov_b32 s59, 0x3f6eb680
	s_mov_b32 s98, 0x3dbcf732
	v_pk_mul_f32 v[100:101], v[88:89], s[0:1] op_sel_hi:[0,1]
	v_pk_fma_f32 v[84:85], v[80:81], s[36:37], v[100:101] op_sel:[1,0,0]
	s_mov_b32 s63, 0xbeb8f4ab
	v_pk_add_f32 v[86:87], v[84:85], v[82:83]
	s_mov_b32 s99, 0xbf7ee86f
	s_mov_b32 s44, s59
	;; [unrolled: 1-line block ×3, first 2 shown]
	v_pk_add_f32 v[82:83], v[66:67], v[52:53]
	s_mov_b32 s38, s63
	s_mov_b32 s39, s99
	v_pk_add_f32 v[84:85], v[66:67], v[52:53] neg_lo:[0,1] neg_hi:[0,1]
	v_pk_mul_f32 v[102:103], v[82:83], s[44:45] op_sel_hi:[0,1]
	v_pk_fma_f32 v[90:91], v[84:85], s[38:39], v[102:103] op_sel:[1,0,0]
	s_mov_b32 s54, 0x3f4c4adb
	v_pk_add_f32 v[92:93], v[90:91], v[86:87]
	s_mov_b32 s48, s82
	s_mov_b32 s49, s6
	v_pk_add_f32 v[86:87], v[48:49], v[58:59]
	s_mov_b32 s64, s83
	s_mov_b32 s65, s54
	v_pk_add_f32 v[90:91], v[58:59], v[48:49] neg_lo:[0,1] neg_hi:[0,1]
	v_pk_mul_f32 v[114:115], v[86:87], s[48:49] op_sel_hi:[0,1]
	v_pk_fma_f32 v[94:95], v[90:91], s[64:65], v[114:115] op_sel:[1,0,0]
	s_mov_b32 s61, 0x3f7ee86f
	v_pk_add_f32 v[96:97], v[92:93], v[94:95]
	s_mov_b32 s40, s98
	s_mov_b32 s41, s59
	v_pk_add_f32 v[92:93], v[50:51], v[60:61]
	s_mov_b32 s74, s61
	s_mov_b32 s75, s63
	v_pk_add_f32 v[94:95], v[60:61], v[50:51] neg_lo:[0,1] neg_hi:[0,1]
	v_pk_mul_f32 v[116:117], v[92:93], s[40:41] op_sel_hi:[0,1]
	v_pk_fma_f32 v[98:99], v[94:95], s[74:75], v[116:117] op_sel:[1,0,0]
	s_mov_b32 s2, 0xbf7ba420
	v_pk_add_f32 v[104:105], v[96:97], v[98:99]
	s_mov_b32 s96, 0x3f3d2fb0
	v_mov_b32_e32 v98, v62
	v_mov_b32_e32 v99, v70
	s_mov_b32 s3, 0xbe3c28d5
	s_mov_b32 s97, 0xbf2c7751
	v_pk_add_f32 v[96:97], v[98:99], v[44:45]
	s_mov_b32 s66, s96
	s_mov_b32 s67, s2
	v_pk_add_f32 v[98:99], v[98:99], v[44:45] neg_lo:[0,1] neg_hi:[0,1]
	s_mov_b32 s52, s97
	s_mov_b32 s53, s3
	v_pk_mul_f32 v[118:119], v[96:97], s[66:67] op_sel_hi:[0,1]
	v_pk_fma_f32 v[106:107], v[98:99], s[52:53], v[118:119] op_sel:[1,0,0]
	s_mov_b32 s86, 0x3f06c442
	v_pk_add_f32 v[106:107], v[106:107], v[104:105]
	s_mov_b32 s87, 0x3f2c7751
	s_mov_b32 s46, s2
	;; [unrolled: 1-line block ×3, first 2 shown]
	v_pk_add_f32 v[104:105], v[42:43], v[40:41]
	s_mov_b32 s50, s3
	s_mov_b32 s51, s87
	v_pk_add_f32 v[110:111], v[40:41], v[42:43] neg_lo:[0,1] neg_hi:[0,1]
	v_pk_mul_f32 v[120:121], v[104:105], s[46:47] op_sel_hi:[0,1]
	v_pk_fma_f32 v[108:109], v[110:111], s[50:51], v[120:121] op_sel:[1,0,0]
	s_mov_b32 s68, s24
	v_pk_add_f32 v[112:113], v[106:107], v[108:109]
	v_mov_b32_e32 v108, v74
	v_mov_b32_e32 v109, v64
	v_pk_add_f32 v[106:107], v[38:39], v[108:109]
	s_mov_b32 s69, s56
	v_pk_add_f32 v[108:109], v[38:39], v[108:109] neg_lo:[0,1] neg_hi:[0,1]
	s_mov_b32 s4, s20
	s_mov_b32 s5, s57
	v_pk_mul_f32 v[122:123], v[106:107], s[68:69] op_sel_hi:[0,1]
	s_mov_b32 s78, s98
	s_mov_b32 s79, s56
	v_pk_fma_f32 v[126:127], v[108:109], s[4:5], v[122:123] op_sel:[1,0,0]
	s_mov_b32 s72, s99
	s_mov_b32 s73, s57
	;; [unrolled: 1-line block ×4, first 2 shown]
	v_pk_mul_f32 v[130:131], v[76:77], s[78:79] op_sel:[1,0]
	v_writelane_b32 v202, s1, 15
	v_pk_add_f32 v[112:113], v[126:127], v[112:113]
	s_movk_i32 s0, 0x44
	s_mov_b32 s70, s3
	s_mov_b32 s71, s86
	v_pk_fma_f32 v[126:127], v[54:55], s[72:73], v[130:131] op_sel_hi:[0,1,1]
	v_pk_mul_f32 v[132:133], v[88:89], s[80:81] op_sel_hi:[0,1]
	v_mad_u32_u24 v125, v124, s0, 0
	v_pk_add_f32 v[126:127], v[126:127], v[72:73] op_sel_hi:[1,0]
	v_pk_fma_f32 v[134:135], v[80:81], s[70:71], v[132:133] op_sel:[1,0,0]
	s_mov_b32 s0, s56
	s_mov_b32 s1, s96
	v_pk_add_f32 v[126:127], v[134:135], v[126:127]
	s_mov_b32 s12, s27
	s_mov_b32 s13, s87
	v_pk_mul_f32 v[134:135], v[82:83], s[0:1] op_sel_hi:[0,1]
	v_pk_fma_f32 v[136:137], v[84:85], s[12:13], v[134:135] op_sel:[1,0,0]
	s_mov_b32 s94, 0x3eb8f4ab
	s_mov_b32 s25, 0xbf65296c
	;; [unrolled: 1-line block ×4, first 2 shown]
	v_pk_add_f32 v[126:127], v[136:137], v[126:127]
	s_mov_b32 s88, s94
	s_mov_b32 s89, s25
	v_pk_mul_f32 v[136:137], v[86:87], s[84:85] op_sel_hi:[0,1]
	s_mov_b32 s8, s24
	s_mov_b32 s9, s2
	v_pk_fma_f32 v[138:139], v[90:91], s[88:89], v[136:137] op_sel:[1,0,0]
	v_writelane_b32 v202, s8, 16
	v_pk_add_f32 v[126:127], v[126:127], v[138:139]
	s_mov_b32 s90, s25
	s_mov_b32 s91, s3
	v_writelane_b32 v202, s9, 17
	v_pk_mul_f32 v[138:139], v[92:93], s[8:9] op_sel_hi:[0,1]
	s_mov_b32 s8, s82
	s_mov_b32 s9, s98
	v_pk_fma_f32 v[140:141], v[94:95], s[90:91], v[138:139] op_sel:[1,0,0]
	v_writelane_b32 v202, s8, 18
	v_pk_add_f32 v[126:127], v[126:127], v[140:141]
	s_mov_b32 s60, s83
	v_writelane_b32 v202, s9, 19
	v_pk_mul_f32 v[140:141], v[96:97], s[8:9] op_sel_hi:[0,1]
	s_mov_b32 s8, s6
	s_mov_b32 s9, s59
	v_pk_fma_f32 v[142:143], v[98:99], s[60:61], v[140:141] op_sel:[1,0,0]
	v_writelane_b32 v202, s8, 20
	v_pk_add_f32 v[126:127], v[142:143], v[126:127]
	;; [unrolled: 8-line block ×3, first 2 shown]
	s_mov_b32 s92, s87
	s_mov_b32 s93, s7
	v_writelane_b32 v202, s9, 23
	v_pk_mul_f32 v[144:145], v[106:107], s[8:9] op_sel_hi:[0,1]
	s_mov_b32 s8, s96
	s_mov_b32 s9, s24
	v_pk_fma_f32 v[146:147], v[108:109], s[92:93], v[144:145] op_sel:[1,0,0]
	s_mov_b32 s18, s97
	s_mov_b32 s19, s25
	;; [unrolled: 1-line block ×4, first 2 shown]
	v_writelane_b32 v202, s8, 24
	v_pk_add_f32 v[146:147], v[146:147], v[126:127]
	s_mov_b32 s28, s99
	v_pk_mul_f32 v[150:151], v[76:77], s[8:9] op_sel:[1,0]
	s_mov_b32 s29, s7
	v_pk_fma_f32 v[126:127], v[54:55], s[18:19], v[150:151] op_sel_hi:[0,1,1]
	v_pk_mul_f32 v[152:153], v[88:89], s[30:31] op_sel_hi:[0,1]
	v_pk_add_f32 v[126:127], v[126:127], v[72:73] op_sel_hi:[1,0]
	v_pk_fma_f32 v[154:155], v[80:81], s[28:29], v[152:153] op_sel:[1,0,0]
	s_mov_b32 s14, s6
	s_mov_b32 s15, s2
	v_pk_add_f32 v[126:127], v[154:155], v[126:127]
	s_mov_b32 s23, 0x3e3c28d5
	s_mov_b32 s22, s7
	v_pk_mul_f32 v[154:155], v[82:83], s[14:15] op_sel_hi:[0,1]
	v_pk_fma_f32 v[156:157], v[84:85], s[22:23], v[154:155] op_sel:[1,0,0]
	s_mov_b32 s16, s2
	s_mov_b32 s17, s56
	v_pk_add_f32 v[126:127], v[156:157], v[126:127]
	s_mov_b32 s26, s3
	v_pk_mul_f32 v[156:157], v[86:87], s[16:17] op_sel_hi:[0,1]
	v_pk_fma_f32 v[158:159], v[90:91], s[26:27], v[156:157] op_sel:[1,0,0]
	s_mov_b32 s10, s82
	s_mov_b32 s11, s96
	v_pk_add_f32 v[126:127], v[126:127], v[158:159]
	v_pk_mul_f32 v[158:159], v[92:93], s[10:11] op_sel_hi:[0,1]
	v_pk_fma_f32 v[160:161], v[94:95], s[86:87], v[158:159] op_sel:[1,0,0]
	s_mov_b32 s58, s56
	v_pk_add_f32 v[126:127], v[126:127], v[160:161]
	s_mov_b32 s62, s27
	v_pk_mul_f32 v[160:161], v[96:97], s[58:59] op_sel_hi:[0,1]
	v_writelane_b32 v202, s9, 25
	v_pk_fma_f32 v[162:163], v[98:99], s[62:63], v[160:161] op_sel:[1,0,0]
	s_mov_b32 s8, s24
	s_mov_b32 s9, s98
	v_pk_add_f32 v[126:127], v[162:163], v[126:127]
	s_mov_b32 s21, s99
	v_pk_mul_f32 v[162:163], v[104:105], s[8:9] op_sel_hi:[0,1]
	v_pk_fma_f32 v[164:165], v[110:111], s[20:21], v[162:163] op_sel:[1,0,0]
	s_mov_b32 s76, s59
	s_mov_b32 s77, s82
	v_lshrrev_b32_e32 v69, 3, v69
	v_pk_add_f32 v[126:127], v[126:127], v[164:165]
	s_mov_b32 s95, s83
	v_pk_mul_f32 v[164:165], v[106:107], s[76:77] op_sel_hi:[0,1]
	v_mul_lo_u32 v69, v69, 11
	v_pk_fma_f32 v[166:167], v[108:109], s[94:95], v[164:165] op_sel:[1,0,0]
	v_sub_u32_e32 v68, v68, v69
	v_pk_add_f32 v[166:167], v[166:167], v[126:127]
	v_mul_u32_u24_e32 v126, 0x165, v68
	v_mov_b32_e32 v68, v92
	v_mov_b32_e32 v69, v95
	v_mov_b32_e32 v170, v88
	v_mov_b32_e32 v171, v81
	v_lshl_add_u32 v125, v126, 2, v125
	v_pk_mul_f32 v[128:129], v[68:69], s[56:57]
	v_pk_mul_f32 v[172:173], v[170:171], s[96:97]
	ds_write2_b32 v125, v113, v112 offset0:10 offset1:11
	ds_write2_b32 v125, v147, v146 offset0:12 offset1:13
	v_mov_b32_e32 v113, v128
	v_mov_b32_e32 v146, v96
	;; [unrolled: 1-line block ×4, first 2 shown]
	v_pk_mul_f32 v[148:149], v[146:147], s[6:7]
	v_pk_fma_f32 v[68:69], v[68:69], s[56:57], v[112:113] neg_lo:[1,0,0] neg_hi:[1,0,0]
	v_mov_b32_e32 v112, v106
	v_mov_b32_e32 v113, v109
	ds_write2_b32 v125, v167, v166 offset0:14 offset1:15
	v_pk_fma_f32 v[166:167], v[170:171], s[96:97], v[82:83] neg_lo:[1,0,0] neg_hi:[1,0,0]
	v_mov_b32_e32 v83, v148
	v_pk_mul_f32 v[182:183], v[112:113], s[2:3]
	v_pk_fma_f32 v[146:147], v[146:147], s[6:7], v[82:83] neg_lo:[1,0,0] neg_hi:[1,0,0]
	v_mov_b32_e32 v83, v182
	v_mov_b32_e32 v174, v82
	;; [unrolled: 1-line block ×3, first 2 shown]
	v_pk_fma_f32 v[184:185], v[112:113], s[2:3], v[82:83] neg_lo:[1,0,0] neg_hi:[1,0,0]
	v_mov_b32_e32 v113, 0x3f6eb680
	v_mov_b32_e32 v112, v40
	v_mul_f32_e32 v187, 0xbeb8f4ab, v54
	v_mov_b32_e32 v186, v38
	v_pk_add_f32 v[188:189], v[76:77], v[40:41]
	v_pk_mul_f32 v[176:177], v[174:175], s[24:25]
	v_mov_b32_e32 v178, v86
	v_mov_b32_e32 v179, v91
	v_pk_add_f32 v[188:189], v[188:189], v[38:39]
	v_pk_fma_f32 v[186:187], v[76:77], v[112:113], v[186:187] neg_lo:[0,0,1] neg_hi:[0,0,1]
	v_mov_b32_e32 v87, v176
	v_pk_mul_f32 v[180:181], v[178:179], s[98:99]
	v_mov_b32_e32 v189, v187
	v_mov_b32_e32 v97, v180
	v_pk_fma_f32 v[168:169], v[174:175], s[24:25], v[86:87] neg_lo:[1,0,0] neg_hi:[1,0,0]
	v_pk_add_f32 v[186:187], v[188:189], v[74:75]
	v_mov_b32_e32 v166, v42
	v_mov_b32_e32 v170, v104
	v_pk_fma_f32 v[174:175], v[178:179], s[98:99], v[96:97] neg_lo:[1,0,0] neg_hi:[1,0,0]
	v_mov_b32_e32 v171, v111
	v_pk_add_f32 v[166:167], v[186:187], v[166:167]
	v_mov_b32_e32 v168, v44
	v_pk_mul_f32 v[178:179], v[170:171], s[82:83]
	v_pk_add_f32 v[166:167], v[166:167], v[168:169]
	v_mov_b32_e32 v174, v50
	v_mov_b32_e32 v87, v178
	v_pk_add_f32 v[166:167], v[174:175], v[166:167]
	v_mov_b32_e32 v68, v48
	v_pk_fma_f32 v[170:171], v[170:171], s[82:83], v[86:87] neg_lo:[1,0,0] neg_hi:[1,0,0]
	v_pk_add_f32 v[68:69], v[68:69], v[166:167]
	v_mov_b32_e32 v146, v52
	v_pk_mul_f32 v[168:169], v[76:77], v[112:113]
	v_pk_add_f32 v[68:69], v[68:69], v[146:147]
	v_mov_b32_e32 v170, v46
	v_fmac_f32_e32 v169, 0xbeb8f4ab, v54
	v_pk_add_f32 v[68:69], v[68:69], v[170:171]
	v_mov_b32_e32 v184, v63
	v_add_f32_e32 v42, v169, v75
	v_pk_add_f32 v[68:69], v[68:69], v[184:185]
	v_pk_fma_f32 v[74:75], v[54:55], s[18:19], v[150:151] op_sel_hi:[0,1,1] neg_lo:[1,0,0] neg_hi:[1,0,0]
	ds_write2_b32 v125, v68, v69 offset1:1
	v_pk_fma_f32 v[68:69], v[80:81], s[28:29], v[152:153] op_sel:[1,0,0] neg_lo:[1,0,0] neg_hi:[1,0,0]
	v_pk_add_f32 v[74:75], v[74:75], v[72:73] op_sel_hi:[1,0]
	v_writelane_b32 v202, s36, 26
	v_pk_add_f32 v[68:69], v[68:69], v[74:75]
	v_pk_fma_f32 v[74:75], v[84:85], s[22:23], v[154:155] op_sel:[1,0,0] neg_lo:[1,0,0] neg_hi:[1,0,0]
	v_writelane_b32 v202, s37, 27
	v_pk_add_f32 v[68:69], v[74:75], v[68:69]
	v_pk_fma_f32 v[74:75], v[90:91], s[26:27], v[156:157] op_sel:[1,0,0] neg_lo:[1,0,0] neg_hi:[1,0,0]
	;; [unrolled: 3-line block ×3, first 2 shown]
	v_mul_f32_e32 v38, 0x3eb8f4ab, v81
	v_pk_add_f32 v[68:69], v[68:69], v[74:75]
	v_pk_fma_f32 v[74:75], v[98:99], s[62:63], v[160:161] op_sel:[1,0,0] neg_lo:[1,0,0] neg_hi:[1,0,0]
	v_mul_f32_e32 v40, 0x3f6eb680, v88
	v_pk_add_f32 v[68:69], v[74:75], v[68:69]
	v_pk_fma_f32 v[74:75], v[110:111], s[20:21], v[162:163] op_sel:[1,0,0] neg_lo:[1,0,0] neg_hi:[1,0,0]
	v_cmp_gt_u32_e32 vcc, 4, v124
	v_pk_add_f32 v[68:69], v[68:69], v[74:75]
	v_pk_fma_f32 v[74:75], v[108:109], s[94:95], v[164:165] op_sel:[1,0,0] neg_lo:[1,0,0] neg_hi:[1,0,0]
	v_writelane_b32 v202, s35, 29
	v_pk_add_f32 v[68:69], v[74:75], v[68:69]
	v_pk_fma_f32 v[74:75], v[54:55], s[72:73], v[130:131] op_sel_hi:[0,1,1] neg_lo:[1,0,0] neg_hi:[1,0,0]
	ds_write2_b32 v125, v68, v69 offset0:2 offset1:3
	v_pk_fma_f32 v[68:69], v[80:81], s[70:71], v[132:133] op_sel:[1,0,0] neg_lo:[1,0,0] neg_hi:[1,0,0]
	v_pk_add_f32 v[74:75], v[74:75], v[72:73] op_sel_hi:[1,0]
	s_nop 0
	v_pk_add_f32 v[68:69], v[68:69], v[74:75]
	v_pk_fma_f32 v[74:75], v[84:85], s[12:13], v[134:135] op_sel:[1,0,0] neg_lo:[1,0,0] neg_hi:[1,0,0]
	s_nop 0
	v_pk_add_f32 v[68:69], v[74:75], v[68:69]
	v_pk_fma_f32 v[74:75], v[90:91], s[88:89], v[136:137] op_sel:[1,0,0] neg_lo:[1,0,0] neg_hi:[1,0,0]
	;; [unrolled: 3-line block ×6, first 2 shown]
	s_nop 0
	v_pk_add_f32 v[68:69], v[74:75], v[68:69]
	v_pk_fma_f32 v[74:75], v[54:55], s[34:35], v[78:79] op_sel_hi:[0,1,1] neg_lo:[1,0,0] neg_hi:[1,0,0]
	ds_write2_b32 v125, v68, v69 offset0:4 offset1:5
	v_pk_fma_f32 v[68:69], v[80:81], s[36:37], v[100:101] op_sel:[1,0,0] neg_lo:[1,0,0] neg_hi:[1,0,0]
	v_pk_add_f32 v[74:75], v[74:75], v[72:73] op_sel_hi:[1,0]
	v_pk_add_f32 v[100:101], v[36:37], v[14:15] neg_lo:[0,1] neg_hi:[0,1]
	v_pk_add_f32 v[68:69], v[68:69], v[74:75]
	v_pk_fma_f32 v[74:75], v[84:85], s[38:39], v[102:103] op_sel:[1,0,0] neg_lo:[1,0,0] neg_hi:[1,0,0]
	v_pk_add_f32 v[102:103], v[34:35], v[16:17] neg_lo:[0,1] neg_hi:[0,1]
	v_pk_add_f32 v[68:69], v[74:75], v[68:69]
	v_pk_fma_f32 v[74:75], v[90:91], s[64:65], v[114:115] op_sel:[1,0,0] neg_lo:[1,0,0] neg_hi:[1,0,0]
	s_nop 0
	v_pk_add_f32 v[68:69], v[68:69], v[74:75]
	v_pk_fma_f32 v[74:75], v[94:95], s[74:75], v[116:117] op_sel:[1,0,0] neg_lo:[1,0,0] neg_hi:[1,0,0]
	s_nop 0
	;; [unrolled: 3-line block ×5, first 2 shown]
	v_pk_add_f32 v[68:69], v[74:75], v[68:69]
	ds_write2_b32 v125, v68, v69 offset0:6 offset1:7
	v_pk_add_f32 v[68:69], v[40:41], v[38:39] neg_lo:[0,1] neg_hi:[0,1]
	v_pk_add_f32 v[74:75], v[40:41], v[38:39]
	v_mul_f32_e32 v38, 0xbf59a7d5, v82
	v_mul_f32_e32 v40, 0xbf06c442, v85
	v_mov_b32_e32 v69, v74
	v_pk_add_f32 v[74:75], v[38:39], v[40:41] neg_lo:[0,1] neg_hi:[0,1]
	v_pk_add_f32 v[78:79], v[38:39], v[40:41]
	v_mul_f32_e32 v38, 0x3f3d2fb0, v86
	v_mul_f32_e32 v40, 0x3f2c7751, v91
	v_mov_b32_e32 v75, v78
	;; [unrolled: 5-line block ×7, first 2 shown]
	v_pk_add_f32 v[76:77], v[40:41], v[38:39] neg_lo:[0,1] neg_hi:[0,1]
	v_pk_add_f32 v[90:91], v[40:41], v[38:39]
	v_add_f32_e32 v38, v173, v172
	v_mov_b32_e32 v77, v90
	v_pk_add_f32 v[76:77], v[76:77], v[72:73] op_sel_hi:[1,0]
	v_add_f32_e32 v40, v177, v176
	v_pk_add_f32 v[68:69], v[68:69], v[76:77]
	v_add_f32_e32 v38, v38, v42
	v_pk_add_f32 v[68:69], v[74:75], v[68:69]
	;; [unrolled: 2-line block ×4, first 2 shown]
	v_add_f32_e32 v72, v129, v128
	v_add_f32_e32 v38, v38, v54
	v_pk_add_f32 v[68:69], v[82:83], v[68:69]
	v_add_f32_e32 v74, v149, v148
	v_add_f32_e32 v38, v38, v72
	v_pk_add_f32 v[68:69], v[68:69], v[84:85]
	;; [unrolled: 3-line block ×3, first 2 shown]
	v_add_f32_e32 v76, v183, v182
	v_add_f32_e32 v38, v38, v75
	ds_write2_b32 v125, v68, v69 offset0:8 offset1:9
	v_pk_add_f32 v[98:99], v[4:5], v[12:13] neg_lo:[0,1] neg_hi:[0,1]
	v_pk_add_f32 v[68:69], v[36:37], v[14:15]
	v_pk_add_f32 v[78:79], v[34:35], v[16:17]
	v_add_f32_e32 v38, v76, v38
	v_pk_add_f32 v[82:83], v[32:33], v[18:19]
	v_pk_add_f32 v[96:97], v[32:33], v[18:19] neg_lo:[0,1] neg_hi:[0,1]
	v_pk_add_f32 v[84:85], v[30:31], v[20:21]
	v_pk_add_f32 v[94:95], v[30:31], v[20:21] neg_lo:[0,1] neg_hi:[0,1]
	;; [unrolled: 2-line block ×5, first 2 shown]
	ds_write_b32 v125, v38 offset:64
	s_and_saveexec_b64 s[34:35], vcc
	s_cbranch_execz .LBB0_16
; %bb.15:
	v_mov_b32_e32 v116, v68
	v_mov_b32_e32 v117, v101
	;; [unrolled: 1-line block ×4, first 2 shown]
	v_pk_mul_f32 v[148:149], v[116:117], s[96:97]
	v_mul_f32_e32 v122, 0x3f2c7751, v97
	v_pk_mul_f32 v[150:151], v[118:119], s[24:25]
	v_mov_b32_e32 v123, v148
	v_mov_b32_e32 v112, v2
	v_add_f32_e32 v131, v151, v150
	v_pk_fma_f32 v[116:117], v[116:117], s[96:97], v[122:123] neg_lo:[1,0,0] neg_hi:[1,0,0]
	v_mov_b32_e32 v123, v150
	v_pk_add_f32 v[150:151], v[112:113], v[4:5]
	v_mov_b32_e32 v120, v82
	v_pk_add_f32 v[150:151], v[150:151], v[36:37]
	;; [unrolled: 2-line block ×3, first 2 shown]
	v_pk_mul_f32 v[152:153], v[120:121], s[98:99]
	v_pk_add_f32 v[150:151], v[150:151], v[32:33]
	v_add_f32_e32 v133, v153, v152
	v_pk_add_f32 v[150:151], v[150:151], v[30:31]
	v_pk_fma_f32 v[118:119], v[118:119], s[24:25], v[122:123] neg_lo:[1,0,0] neg_hi:[1,0,0]
	v_mov_b32_e32 v123, v152
	v_mov_b32_e32 v151, v4
	;; [unrolled: 1-line block ×4, first 2 shown]
	v_pk_add_f32 v[150:151], v[150:151], v[152:153]
	v_mul_f32_e32 v147, 0xbeb8f4ab, v99
	v_mov_b32_e32 v112, v22
	v_pk_add_f32 v[152:153], v[150:151], v[22:23]
	v_mov_b32_e32 v146, v10
	s_mov_b32 s36, 0xbe8c1d8e
	v_pk_add_f32 v[152:153], v[152:153], v[10:11]
	v_pk_fma_f32 v[146:147], v[150:151], v[112:113], v[146:147] neg_lo:[0,0,1] neg_hi:[0,0,1]
	v_mov_b32_e32 v114, v0
	v_mov_b32_e32 v115, v2
	v_mov_b32_e32 v128, v84
	v_mov_b32_e32 v129, v95
	s_mov_b32 s37, 0xbf763a35
	v_mov_b32_e32 v153, v147
	v_mov_b32_e32 v134, v86
	;; [unrolled: 1-line block ×3, first 2 shown]
	v_pk_mul_f32 v[154:155], v[128:129], s[36:37]
	v_pk_add_f32 v[146:147], v[152:153], v[114:115]
	v_mov_b32_e32 v116, v8
	v_mov_b32_e32 v140, v80
	;; [unrolled: 1-line block ×3, first 2 shown]
	v_pk_mul_f32 v[156:157], v[134:135], s[6:7]
	v_pk_fma_f32 v[120:121], v[120:121], s[98:99], v[122:123] neg_lo:[1,0,0] neg_hi:[1,0,0]
	v_mov_b32_e32 v123, v154
	v_pk_add_f32 v[116:117], v[116:117], v[146:147]
	v_mov_b32_e32 v118, v6
	v_pk_mul_f32 v[158:159], v[140:141], s[82:83]
	v_mov_b32_e32 v160, v74
	v_mov_b32_e32 v161, v77
	v_pk_fma_f32 v[128:129], v[128:129], s[36:37], v[122:123] neg_lo:[1,0,0] neg_hi:[1,0,0]
	v_mov_b32_e32 v123, v156
	v_pk_add_f32 v[116:117], v[118:119], v[116:117]
	v_mov_b32_e32 v120, v20
	v_pk_mul_f32 v[166:167], v[160:161], s[2:3]
	v_pk_fma_f32 v[134:135], v[134:135], s[6:7], v[122:123] neg_lo:[1,0,0] neg_hi:[1,0,0]
	v_mov_b32_e32 v123, v158
	v_pk_add_f32 v[116:117], v[120:121], v[116:117]
	v_mov_b32_e32 v128, v18
	v_pk_fma_f32 v[140:141], v[140:141], s[82:83], v[122:123] neg_lo:[1,0,0] neg_hi:[1,0,0]
	v_mov_b32_e32 v123, v166
	v_pk_add_f32 v[116:117], v[128:129], v[116:117]
	v_mov_b32_e32 v134, v16
	v_add_f32_e32 v127, v149, v148
	v_pk_fma_f32 v[148:149], v[160:161], s[2:3], v[122:123] neg_lo:[1,0,0] neg_hi:[1,0,0]
	v_pk_add_f32 v[116:117], v[134:135], v[116:117]
	v_mov_b32_e32 v140, v14
	v_readlane_b32 s36, v202, 24
	v_pk_add_f32 v[116:117], v[140:141], v[116:117]
	v_mov_b32_e32 v148, v12
	v_readlane_b32 s37, v202, 25
	v_add_u32_e32 v123, 0x484, v125
	v_pk_add_f32 v[116:117], v[148:149], v[116:117]
	v_pk_mul_f32 v[168:169], v[150:151], s[36:37] op_sel:[1,0]
	ds_write2_b32 v123, v116, v117 offset1:1
	v_pk_mul_f32 v[116:117], v[68:69], s[30:31] op_sel_hi:[0,1]
	v_pk_fma_f32 v[170:171], v[98:99], s[18:19], v[168:169] op_sel:[1,0,0] neg_lo:[1,0,0] neg_hi:[1,0,0]
	v_pk_mul_f32 v[118:119], v[78:79], s[14:15] op_sel_hi:[0,1]
	v_pk_fma_f32 v[148:149], v[100:101], s[28:29], v[116:117] op_sel:[1,0,0] neg_lo:[1,0,0] neg_hi:[1,0,0]
	v_pk_add_f32 v[170:171], v[114:115], v[170:171] op_sel:[1,0]
	v_pk_mul_f32 v[120:121], v[82:83], s[16:17] op_sel_hi:[0,1]
	v_pk_fma_f32 v[152:153], v[102:103], s[22:23], v[118:119] op_sel:[1,0,0] neg_lo:[1,0,0] neg_hi:[1,0,0]
	v_pk_add_f32 v[148:149], v[170:171], v[148:149]
	v_add_f32_e32 v137, v155, v154
	v_pk_mul_f32 v[128:129], v[84:85], s[10:11] op_sel_hi:[0,1]
	v_pk_fma_f32 v[154:155], v[96:97], s[26:27], v[120:121] op_sel:[1,0,0] neg_lo:[1,0,0] neg_hi:[1,0,0]
	v_pk_add_f32 v[148:149], v[148:149], v[152:153]
	v_add_f32_e32 v139, v157, v156
	;; [unrolled: 4-line block ×3, first 2 shown]
	v_pk_mul_f32 v[140:141], v[80:81], s[8:9] op_sel_hi:[0,1]
	v_pk_fma_f32 v[158:159], v[92:93], s[62:63], v[134:135] op_sel:[1,0,0] neg_lo:[1,0,0] neg_hi:[1,0,0]
	v_pk_add_f32 v[148:149], v[148:149], v[156:157]
	v_pk_mul_f32 v[146:147], v[74:75], s[76:77] op_sel_hi:[0,1]
	v_pk_fma_f32 v[160:161], v[90:91], s[20:21], v[140:141] op_sel:[1,0,0] neg_lo:[1,0,0] neg_hi:[1,0,0]
	v_pk_add_f32 v[148:149], v[148:149], v[158:159]
	v_add_f32_e32 v145, v167, v166
	v_pk_fma_f32 v[166:167], v[76:77], s[94:95], v[146:147] op_sel:[1,0,0] neg_lo:[1,0,0] neg_hi:[1,0,0]
	v_pk_add_f32 v[148:149], v[148:149], v[160:161]
	v_readlane_b32 s36, v202, 16
	v_add_u32_e32 v6, 0x48c, v125
	v_pk_add_f32 v[148:149], v[148:149], v[166:167]
	v_readlane_b32 s37, v202, 17
	v_pk_mul_f32 v[184:185], v[150:151], s[78:79] op_sel:[1,0]
	ds_write2_b32 v6, v148, v149 offset1:1
	v_pk_mul_f32 v[148:149], v[68:69], s[80:81] op_sel_hi:[0,1]
	v_pk_mul_f32 v[156:157], v[84:85], s[36:37] op_sel_hi:[0,1]
	v_readlane_b32 s36, v202, 18
	v_pk_fma_f32 v[186:187], v[98:99], s[72:73], v[184:185] op_sel:[1,0,0] neg_lo:[1,0,0] neg_hi:[1,0,0]
	v_pk_mul_f32 v[152:153], v[78:79], s[0:1] op_sel_hi:[0,1]
	v_readlane_b32 s37, v202, 19
	v_pk_fma_f32 v[170:171], v[100:101], s[70:71], v[148:149] op_sel:[1,0,0] neg_lo:[1,0,0] neg_hi:[1,0,0]
	v_pk_add_f32 v[186:187], v[114:115], v[186:187] op_sel:[1,0]
	v_pk_mul_f32 v[154:155], v[82:83], s[84:85] op_sel_hi:[0,1]
	v_pk_mul_f32 v[158:159], v[86:87], s[36:37] op_sel_hi:[0,1]
	v_readlane_b32 s36, v202, 20
	v_pk_fma_f32 v[172:173], v[102:103], s[12:13], v[152:153] op_sel:[1,0,0] neg_lo:[1,0,0] neg_hi:[1,0,0]
	v_pk_add_f32 v[170:171], v[186:187], v[170:171]
	v_readlane_b32 s37, v202, 21
	v_pk_fma_f32 v[174:175], v[96:97], s[88:89], v[154:155] op_sel:[1,0,0] neg_lo:[1,0,0] neg_hi:[1,0,0]
	v_pk_add_f32 v[170:171], v[170:171], v[172:173]
	v_pk_mul_f32 v[160:161], v[80:81], s[36:37] op_sel_hi:[0,1]
	v_readlane_b32 s36, v202, 22
	v_pk_fma_f32 v[176:177], v[94:95], s[90:91], v[156:157] op_sel:[1,0,0] neg_lo:[1,0,0] neg_hi:[1,0,0]
	v_pk_add_f32 v[170:171], v[170:171], v[174:175]
	v_readlane_b32 s37, v202, 23
	v_pk_fma_f32 v[178:179], v[92:93], s[60:61], v[158:159] op_sel:[1,0,0] neg_lo:[1,0,0] neg_hi:[1,0,0]
	v_pk_add_f32 v[170:171], v[170:171], v[176:177]
	v_pk_mul_f32 v[166:167], v[74:75], s[36:37] op_sel_hi:[0,1]
	v_pk_fma_f32 v[180:181], v[90:91], s[54:55], v[160:161] op_sel:[1,0,0] neg_lo:[1,0,0] neg_hi:[1,0,0]
	v_pk_add_f32 v[170:171], v[170:171], v[178:179]
	v_pk_fma_f32 v[182:183], v[76:77], s[92:93], v[166:167] op_sel:[1,0,0] neg_lo:[1,0,0] neg_hi:[1,0,0]
	v_pk_add_f32 v[170:171], v[170:171], v[180:181]
	v_readlane_b32 s36, v202, 14
	v_add_u32_e32 v6, 0x494, v125
	v_pk_add_f32 v[170:171], v[170:171], v[182:183]
	v_readlane_b32 s37, v202, 15
	ds_write2_b32 v6, v170, v171 offset1:1
	v_pk_mul_f32 v[172:173], v[78:79], s[44:45] op_sel_hi:[0,1]
	v_pk_mul_f32 v[170:171], v[68:69], s[36:37] op_sel_hi:[0,1]
	;; [unrolled: 1-line block ×7, first 2 shown]
	s_mov_b64 s[82:83], s[68:69]
	s_mov_b64 s[68:69], s[46:47]
	;; [unrolled: 1-line block ×7, first 2 shown]
	v_readlane_b32 s36, v202, 28
	v_mul_f32_e32 v28, 0xbf7ba420, v151
	v_mul_f32_e32 v22, 0x3f6eb680, v151
	v_readlane_b32 s42, v202, 26
	v_pk_mul_f32 v[150:151], v[150:151], s[44:45] op_sel:[1,0]
	v_readlane_b32 s37, v202, 29
	v_readlane_b32 s43, v202, 27
	v_pk_fma_f32 v[188:189], v[102:103], s[38:39], v[172:173] op_sel:[1,0,0] neg_lo:[1,0,0] neg_hi:[1,0,0]
	v_pk_fma_f32 v[200:201], v[98:99], s[36:37], v[150:151] op_sel:[1,0,0] neg_lo:[1,0,0] neg_hi:[1,0,0]
	;; [unrolled: 1-line block ×3, first 2 shown]
	v_pk_add_f32 v[200:201], v[114:115], v[200:201] op_sel:[1,0]
	v_pk_fma_f32 v[190:191], v[96:97], s[64:65], v[174:175] op_sel:[1,0,0] neg_lo:[1,0,0] neg_hi:[1,0,0]
	v_pk_add_f32 v[186:187], v[200:201], v[186:187]
	v_pk_fma_f32 v[192:193], v[94:95], s[74:75], v[176:177] op_sel:[1,0,0] neg_lo:[1,0,0] neg_hi:[1,0,0]
	v_pk_add_f32 v[186:187], v[186:187], v[188:189]
	v_pk_fma_f32 v[194:195], v[92:93], s[52:53], v[178:179] op_sel:[1,0,0] neg_lo:[1,0,0] neg_hi:[1,0,0]
	v_pk_add_f32 v[186:187], v[186:187], v[190:191]
	v_pk_fma_f32 v[196:197], v[90:91], s[50:51], v[180:181] op_sel:[1,0,0] neg_lo:[1,0,0] neg_hi:[1,0,0]
	v_pk_add_f32 v[186:187], v[186:187], v[192:193]
	v_pk_fma_f32 v[198:199], v[76:77], s[4:5], v[182:183] op_sel:[1,0,0] neg_lo:[1,0,0] neg_hi:[1,0,0]
	v_pk_add_f32 v[186:187], v[186:187], v[194:195]
	v_mul_f32_e32 v38, 0x3f6eb680, v68
	v_pk_add_f32 v[186:187], v[186:187], v[196:197]
	v_mul_f32_e32 v40, 0x3eb8f4ab, v101
	v_add_u32_e32 v6, 0x49c, v125
	v_pk_add_f32 v[186:187], v[186:187], v[198:199]
	v_mul_f32_e32 v42, 0xbf59a7d5, v78
	v_mul_f32_e32 v54, 0xbf06c442, v103
	v_fmac_f32_e32 v22, 0xbeb8f4ab, v99
	ds_write2_b32 v6, v186, v187 offset1:1
	v_pk_add_f32 v[186:187], v[38:39], v[40:41] neg_lo:[0,1] neg_hi:[0,1]
	v_pk_add_f32 v[188:189], v[38:39], v[40:41]
	v_mul_f32_e32 v72, 0x3f3d2fb0, v82
	v_add_f32_e32 v2, v2, v22
	v_mov_b32_e32 v187, v188
	v_pk_add_f32 v[188:189], v[42:43], v[54:55] neg_lo:[0,1] neg_hi:[0,1]
	v_pk_add_f32 v[190:191], v[42:43], v[54:55]
	v_mul_f32_e32 v130, 0xbf1a4643, v84
	v_mul_f32_e32 v132, 0xbf4c4adb, v95
	v_add_f32_e32 v2, v2, v127
	v_mov_b32_e32 v189, v190
	v_pk_add_f32 v[190:191], v[72:73], v[122:123] neg_lo:[0,1] neg_hi:[0,1]
	v_pk_add_f32 v[122:123], v[72:73], v[122:123]
	v_mul_f32_e32 v136, 0x3ee437d1, v86
	;; [unrolled: 6-line block ×5, first 2 shown]
	v_add_f32_e32 v2, v2, v139
	v_mov_b32_e32 v133, v136
	v_pk_add_f32 v[136:137], v[162:163], v[164:165] neg_lo:[0,1] neg_hi:[0,1]
	v_pk_add_f32 v[138:139], v[162:163], v[164:165]
	v_add_f32_e32 v2, v2, v143
	v_mov_b32_e32 v137, v138
	v_pk_add_f32 v[138:139], v[28:29], v[0:1] neg_lo:[0,1] neg_hi:[0,1]
	v_pk_add_f32 v[142:143], v[28:29], v[0:1]
	v_add_u32_e32 v6, 0x4a4, v125
	v_mov_b32_e32 v139, v142
	v_pk_add_f32 v[138:139], v[114:115], v[138:139] op_sel:[1,0]
	v_pk_fma_f32 v[150:151], v[98:99], s[36:37], v[150:151] op_sel:[1,0,0]
	v_pk_add_f32 v[138:139], v[138:139], v[186:187]
	v_pk_add_f32 v[150:151], v[114:115], v[150:151] op_sel:[1,0]
	v_pk_add_f32 v[138:139], v[138:139], v[188:189]
	v_pk_fma_f32 v[142:143], v[90:91], s[50:51], v[180:181] op_sel:[1,0,0]
	v_pk_add_f32 v[138:139], v[138:139], v[190:191]
	v_add_f32_e32 v2, v2, v145
	v_pk_add_f32 v[122:123], v[138:139], v[122:123]
	v_pk_fma_f32 v[138:139], v[92:93], s[52:53], v[178:179] op_sel:[1,0,0]
	v_pk_add_f32 v[122:123], v[122:123], v[130:131]
	v_pk_fma_f32 v[130:131], v[102:103], s[38:39], v[172:173] op_sel:[1,0,0]
	;; [unrolled: 2-line block ×3, first 2 shown]
	v_pk_add_f32 v[122:123], v[122:123], v[136:137]
	ds_write2_b32 v6, v122, v123 offset1:1
	v_pk_fma_f32 v[122:123], v[100:101], s[42:43], v[170:171] op_sel:[1,0,0]
	v_pk_fma_f32 v[136:137], v[94:95], s[74:75], v[176:177] op_sel:[1,0,0]
	v_pk_add_f32 v[122:123], v[150:151], v[122:123]
	v_pk_fma_f32 v[144:145], v[76:77], s[4:5], v[182:183] op_sel:[1,0,0]
	v_pk_add_f32 v[122:123], v[122:123], v[130:131]
	v_add_u32_e32 v6, 0x4ac, v125
	v_pk_add_f32 v[122:123], v[122:123], v[132:133]
	v_pk_fma_f32 v[130:131], v[102:103], s[12:13], v[152:153] op_sel:[1,0,0]
	v_pk_add_f32 v[122:123], v[122:123], v[136:137]
	v_pk_fma_f32 v[132:133], v[96:97], s[88:89], v[154:155] op_sel:[1,0,0]
	;; [unrolled: 2-line block ×4, first 2 shown]
	v_pk_add_f32 v[122:123], v[122:123], v[144:145]
	ds_write2_b32 v6, v123, v122 offset1:1
	v_pk_fma_f32 v[122:123], v[100:101], s[70:71], v[148:149] op_sel:[1,0,0]
	v_pk_fma_f32 v[148:149], v[98:99], s[72:73], v[184:185] op_sel:[1,0,0]
	;; [unrolled: 1-line block ×3, first 2 shown]
	v_pk_add_f32 v[148:149], v[114:115], v[148:149] op_sel:[1,0]
	v_pk_fma_f32 v[144:145], v[76:77], s[92:93], v[166:167] op_sel:[1,0,0]
	v_pk_add_f32 v[122:123], v[148:149], v[122:123]
	v_add_u32_e32 v6, 0x4b4, v125
	v_pk_add_f32 v[122:123], v[122:123], v[130:131]
	v_pk_fma_f32 v[116:117], v[100:101], s[28:29], v[116:117] op_sel:[1,0,0]
	v_pk_add_f32 v[122:123], v[122:123], v[132:133]
	v_pk_fma_f32 v[118:119], v[102:103], s[22:23], v[118:119] op_sel:[1,0,0]
	;; [unrolled: 2-line block ×4, first 2 shown]
	v_pk_add_f32 v[122:123], v[122:123], v[142:143]
	s_mov_b64 s[42:43], s[44:45]
	v_pk_add_f32 v[122:123], v[122:123], v[144:145]
	ds_write2_b32 v6, v123, v122 offset1:1
	v_pk_fma_f32 v[122:123], v[94:95], s[86:87], v[128:129] op_sel:[1,0,0]
	v_pk_fma_f32 v[128:129], v[92:93], s[62:63], v[134:135] op_sel:[1,0,0]
	v_pk_fma_f32 v[134:135], v[98:99], s[18:19], v[168:169] op_sel:[1,0,0]
	s_mov_b64 s[44:45], s[48:49]
	v_pk_add_f32 v[114:115], v[114:115], v[134:135] op_sel:[1,0]
	s_mov_b64 s[48:49], s[40:41]
	v_pk_add_f32 v[114:115], v[114:115], v[116:117]
	s_mov_b64 s[40:41], s[66:67]
	v_pk_add_f32 v[114:115], v[114:115], v[118:119]
	;; [unrolled: 2-line block ×5, first 2 shown]
	s_mov_b32 s82, 0xbf59a7d5
	v_pk_fma_f32 v[132:133], v[76:77], s[94:95], v[146:147] op_sel:[1,0,0]
	v_pk_add_f32 v[114:115], v[114:115], v[130:131]
	s_mov_b32 s83, 0xbf06c442
	v_add_u32_e32 v6, 0x4bc, v125
	v_pk_add_f32 v[114:115], v[114:115], v[132:133]
	ds_write2_b32 v6, v115, v114 offset1:1
	ds_write_b32 v125, v2 offset:1220
	v_mov_b32_e32 v0, v115
.LBB0_16:
	s_or_b64 exec, exec, s[34:35]
	v_add_f32_e32 v0, v65, v55
	v_add_f32_e32 v0, v0, v57
	;; [unrolled: 1-line block ×3, first 2 shown]
	v_mov_b32_e32 v116, v67
	v_mov_b32_e32 v67, v58
	;; [unrolled: 1-line block ×4, first 2 shown]
	v_pk_add_f32 v[114:115], v[66:67], v[114:115] neg_lo:[0,1] neg_hi:[0,1]
	v_mov_b32_e32 v117, v49
	v_mov_b32_e32 v66, v53
	;; [unrolled: 1-line block ×3, first 2 shown]
	v_pk_add_f32 v[66:67], v[116:117], v[66:67]
	v_mov_b32_e32 v117, v115
	v_mov_b32_e32 v116, v67
	v_pk_mul_f32 v[128:129], v[116:117], s[98:99]
	v_mov_b32_e32 v118, v44
	v_mov_b32_e32 v57, v128
	v_pk_fma_f32 v[120:121], v[116:117], s[98:99], v[56:57]
	v_mov_b32_e32 v116, v62
	v_mov_b32_e32 v117, v60
	;; [unrolled: 1-line block ×3, first 2 shown]
	v_pk_add_f32 v[116:117], v[116:117], v[118:119] neg_lo:[0,1] neg_hi:[0,1]
	v_mov_b32_e32 v118, v66
	v_mov_b32_e32 v119, v114
	v_pk_mul_f32 v[132:133], v[118:119], s[24:25]
	v_mov_b32_e32 v136, v45
	v_mov_b32_e32 v57, v132
	v_pk_fma_f32 v[134:135], v[118:119], s[24:25], v[56:57]
	v_mov_b32_e32 v118, v70
	v_mov_b32_e32 v119, v51
	;; [unrolled: 1-line block ×3, first 2 shown]
	v_pk_add_f32 v[118:119], v[118:119], v[136:137]
	v_mov_b32_e32 v137, v116
	v_mov_b32_e32 v136, v118
	s_mov_b32 s36, 0x3f06c442
	v_pk_mul_f32 v[138:139], v[136:137], s[6:7]
	s_mov_b32 s37, 0x3f2c7751
	v_mov_b32_e32 v57, v138
	v_add_f32_e32 v0, v0, v59
	s_mov_b32 s34, s83
	s_mov_b32 s35, s37
	v_pk_fma_f32 v[136:137], v[136:137], s[6:7], v[56:57]
	v_mov_b32_e32 v57, v73
	v_mov_b32_e32 v62, v46
	v_add_f32_e32 v54, v0, v61
	v_pk_mul_f32 v[122:123], v[114:115], s[34:35]
	s_mov_b32 s35, s7
	s_mov_b32 s25, s6
	v_pk_add_f32 v[56:57], v[56:57], v[62:63] neg_lo:[0,1] neg_hi:[0,1]
	s_mov_b32 s6, s94
	s_mov_b32 s7, s3
	v_pk_add_f32 v[54:55], v[54:55], v[70:71]
	v_mov_b32_e32 v60, v105
	v_mov_b32_e32 v61, v110
	;; [unrolled: 1-line block ×4, first 2 shown]
	v_pk_mul_f32 v[142:143], v[56:57], s[6:7]
	v_mov_b32_e32 v58, v89
	v_mov_b32_e32 v59, v55
	s_mov_b32 s6, s59
	s_mov_b32 s7, s2
	v_pk_mul_f32 v[146:147], v[60:61], s[82:83]
	v_mov_b32_e32 v112, v41
	v_pk_mul_f32 v[72:73], v[62:63], s[96:97]
	v_pk_fma_f32 v[144:145], v[58:59], s[6:7], v[142:143]
	v_pk_fma_f32 v[142:143], v[58:59], s[6:7], v[142:143] neg_lo:[0,0,1] neg_hi:[0,0,1]
	v_mov_b32_e32 v59, v146
	s_mov_b32 s6, 0xbe8c1d8e
	v_pk_add_f32 v[40:41], v[54:55], v[112:113]
	v_pk_mul_f32 v[112:113], v[54:55], v[112:113]
	v_mov_b32_e32 v127, v72
	v_pk_fma_f32 v[148:149], v[60:61], s[82:83], v[58:59]
	v_mov_b32_e32 v58, v119
	v_mov_b32_e32 v59, v117
	s_mov_b32 s7, 0xbf763a35
	v_mov_b32_e32 v41, v113
	v_mov_b32_e32 v134, v45
	v_mul_f32_e32 v45, 0xbeb8f4ab, v57
	v_mov_b32_e32 v44, v39
	v_pk_fma_f32 v[62:63], v[62:63], s[96:97], v[126:127]
	v_pk_mul_f32 v[150:151], v[58:59], s[6:7]
	v_pk_add_f32 v[38:39], v[40:41], v[44:45]
	v_mov_b32_e32 v127, v150
	v_pk_mul_f32 v[154:155], v[60:61], s[6:7]
	v_mov_b32_e32 v62, v43
	v_pk_add_f32 v[38:39], v[38:39], v[64:65]
	v_pk_fma_f32 v[152:153], v[58:59], s[6:7], v[126:127]
	v_mov_b32_e32 v0, v155
	v_mov_b32_e32 v127, v154
	;; [unrolled: 1-line block ×4, first 2 shown]
	v_pk_add_f32 v[38:39], v[38:39], v[62:63]
	v_pk_mul_f32 v[156:157], v[154:155], s[2:3]
	v_mov_b32_e32 v120, v51
	v_pk_add_f32 v[38:39], v[38:39], v[134:135]
	v_pk_fma_f32 v[58:59], v[60:61], s[6:7], v[0:1]
	v_pk_fma_f32 v[60:61], v[60:61], s[6:7], v[126:127] neg_lo:[1,0,0] neg_hi:[1,0,0]
	v_mov_b32_e32 v127, v156
	v_mov_b32_e32 v152, v49
	v_pk_add_f32 v[38:39], v[120:121], v[38:39]
	v_pk_fma_f32 v[154:155], v[154:155], s[2:3], v[126:127]
	v_mov_b32_e32 v136, v53
	v_pk_add_f32 v[38:39], v[152:153], v[38:39]
	v_readlane_b32 s2, v202, 24
	v_pk_mul_f32 v[158:159], v[56:57], s[18:19] op_sel:[1,0]
	v_mov_b32_e32 v148, v47
	v_pk_add_f32 v[38:39], v[38:39], v[136:137]
	v_readlane_b32 s3, v202, 25
	v_pk_mul_f32 v[160:161], v[56:57], s[28:29] op_sel_hi:[0,1]
	v_sub_f32_e32 v0, v72, v73
	v_pk_add_f32 v[38:39], v[38:39], v[148:149]
	v_mov_b32_e32 v154, v71
	v_pk_fma_f32 v[72:73], v[54:55], s[2:3], v[158:159] op_sel:[1,0,0]
	v_pk_mul_f32 v[162:163], v[114:115], s[22:23] op_sel_hi:[0,1]
	v_pk_add_f32 v[70:71], v[38:39], v[154:155]
	v_pk_fma_f32 v[38:39], v[88:89], s[30:31], v[160:161] op_sel:[1,0,0]
	v_pk_add_f32 v[72:73], v[72:73], v[64:65] op_sel:[0,1]
	v_pk_mul_f32 v[164:165], v[114:115], s[26:27] op_sel:[1,0]
	v_pk_fma_f32 v[40:41], v[66:67], s[14:15], v[162:163] op_sel_hi:[0,1,1]
	v_pk_add_f32 v[38:39], v[38:39], v[72:73]
	v_pk_fma_f32 v[44:45], v[66:67], s[16:17], v[164:165] op_sel:[1,0,0]
	v_pk_mul_f32 v[46:47], v[116:117], s[36:37] op_sel:[1,0]
	v_pk_add_f32 v[38:39], v[40:41], v[38:39]
	v_pk_fma_f32 v[50:51], v[118:119], s[10:11], v[46:47] op_sel:[1,0,0]
	v_pk_mul_f32 v[52:53], v[116:117], s[62:63] op_sel_hi:[0,1]
	v_pk_add_f32 v[38:39], v[38:39], v[44:45]
	v_pk_fma_f32 v[62:63], v[118:119], s[58:59], v[52:53] op_sel_hi:[0,1,1]
	v_pk_add_f32 v[38:39], v[38:39], v[50:51]
	v_pk_mul_f32 v[40:41], v[110:111], s[20:21] op_sel_hi:[0,1]
	v_pk_add_f32 v[38:39], v[62:63], v[38:39]
	v_pk_fma_f32 v[44:45], v[104:105], s[8:9], v[40:41] op_sel:[1,0,0]
	v_fmac_f32_e32 v113, 0x3eb8f4ab, v57
	v_pk_add_f32 v[38:39], v[38:39], v[44:45]
	v_pk_mul_f32 v[44:45], v[108:109], s[94:95] op_sel_hi:[0,1]
	v_add_f32_e32 v12, v113, v65
	v_pk_fma_f32 v[50:51], v[106:107], s[76:77], v[44:45] op_sel:[1,0,0]
	v_pk_fma_f32 v[112:113], v[54:55], s[2:3], v[158:159] op_sel:[1,0,0] neg_lo:[0,0,1] neg_hi:[0,0,1]
	v_pk_add_f32 v[72:73], v[50:51], v[38:39]
	v_pk_fma_f32 v[38:39], v[88:89], s[30:31], v[160:161] op_sel:[1,0,0] neg_lo:[0,0,1] neg_hi:[0,0,1]
	v_pk_add_f32 v[112:113], v[112:113], v[64:65] op_sel:[0,1]
	v_pk_fma_f32 v[50:51], v[66:67], s[14:15], v[162:163] op_sel_hi:[0,1,1] neg_lo:[0,0,1] neg_hi:[0,0,1]
	v_pk_add_f32 v[38:39], v[38:39], v[112:113]
	v_pk_fma_f32 v[62:63], v[66:67], s[16:17], v[164:165] op_sel:[1,0,0] neg_lo:[0,0,1] neg_hi:[0,0,1]
	v_pk_add_f32 v[38:39], v[50:51], v[38:39]
	v_pk_fma_f32 v[46:47], v[118:119], s[10:11], v[46:47] op_sel:[1,0,0] neg_lo:[0,0,1] neg_hi:[0,0,1]
	v_pk_add_f32 v[38:39], v[38:39], v[62:63]
	v_pk_add_f32 v[42:43], v[144:145], v[64:65]
	v_pk_fma_f32 v[52:53], v[118:119], s[58:59], v[52:53] op_sel_hi:[0,1,1] neg_lo:[0,0,1] neg_hi:[0,0,1]
	v_pk_add_f32 v[38:39], v[38:39], v[46:47]
	v_pk_add_f32 v[48:49], v[142:143], v[64:65]
	v_add_f32_e32 v12, v0, v12
	v_mov_b32_e32 v0, v43
	v_pk_add_f32 v[38:39], v[52:53], v[38:39]
	v_pk_fma_f32 v[40:41], v[104:105], s[8:9], v[40:41] op_sel:[1,0,0] neg_lo:[0,0,1] neg_hi:[0,0,1]
	v_sub_f32_e32 v2, v132, v133
	v_pk_add_f32 v[42:43], v[144:145], v[0:1]
	v_mov_b32_e32 v0, v49
	v_pk_add_f32 v[38:39], v[38:39], v[40:41]
	v_pk_fma_f32 v[40:41], v[106:107], s[76:77], v[44:45] op_sel:[1,0,0] neg_lo:[0,0,1] neg_hi:[0,0,1]
	s_mov_b32 s34, s20
	v_sub_f32_e32 v6, v128, v129
	v_pk_fma_f32 v[128:129], v[66:67], s[10:11], v[122:123]
	v_pk_add_f32 v[48:49], v[142:143], v[0:1]
	v_add_f32_e32 v0, v2, v12
	v_pk_add_f32 v[112:113], v[40:41], v[38:39]
	v_pk_mul_f32 v[38:39], v[56:57], s[72:73] op_sel:[1,0]
	v_pk_mul_f32 v[130:131], v[116:117], s[34:35]
	v_pk_fma_f32 v[122:123], v[66:67], s[10:11], v[122:123] neg_lo:[0,0,1] neg_hi:[0,0,1]
	v_pk_add_f32 v[42:43], v[128:129], v[42:43]
	v_add_f32_e32 v2, v0, v6
	v_mov_b32_e32 v0, v129
	v_pk_mul_f32 v[40:41], v[56:57], s[70:71] op_sel_hi:[0,1]
	v_pk_fma_f32 v[132:133], v[54:55], s[78:79], v[38:39] op_sel:[1,0,0]
	v_pk_fma_f32 v[140:141], v[118:119], s[24:25], v[130:131]
	v_pk_add_f32 v[48:49], v[122:123], v[48:49]
	v_pk_add_f32 v[42:43], v[42:43], v[0:1]
	v_mov_b32_e32 v0, v123
	v_pk_fma_f32 v[44:45], v[88:89], s[80:81], v[40:41] op_sel:[1,0,0]
	v_pk_mul_f32 v[46:47], v[114:115], s[12:13] op_sel_hi:[0,1]
	v_pk_add_f32 v[132:133], v[132:133], v[64:65] op_sel:[0,1]
	v_pk_fma_f32 v[130:131], v[118:119], s[24:25], v[130:131] neg_lo:[0,0,1] neg_hi:[0,0,1]
	v_pk_add_f32 v[48:49], v[48:49], v[0:1]
	v_mov_b32_e32 v0, v141
	v_pk_fma_f32 v[50:51], v[66:67], s[0:1], v[46:47] op_sel_hi:[0,1,1]
	v_pk_mul_f32 v[52:53], v[114:115], s[88:89] op_sel:[1,0]
	v_readlane_b32 s2, v202, 16
	v_pk_add_f32 v[44:45], v[44:45], v[132:133]
	v_pk_add_f32 v[42:43], v[42:43], v[0:1]
	v_mov_b32_e32 v0, v131
	v_pk_fma_f32 v[62:63], v[66:67], s[84:85], v[52:53] op_sel:[1,0,0]
	v_pk_mul_f32 v[120:121], v[116:117], s[90:91] op_sel:[1,0]
	v_readlane_b32 s3, v202, 17
	v_readlane_b32 s8, v202, 18
	v_pk_add_f32 v[44:45], v[50:51], v[44:45]
	v_pk_add_f32 v[48:49], v[48:49], v[0:1]
	v_pk_fma_f32 v[122:123], v[118:119], s[2:3], v[120:121] op_sel:[1,0,0]
	v_pk_mul_f32 v[128:129], v[116:117], s[60:61] op_sel_hi:[0,1]
	v_readlane_b32 s9, v202, 19
	v_pk_add_f32 v[44:45], v[44:45], v[62:63]
	v_readlane_b32 s6, v202, 20
	v_pk_add_f32 v[48:49], v[130:131], v[48:49]
	v_pk_fma_f32 v[130:131], v[118:119], s[8:9], v[128:129] op_sel_hi:[0,1,1]
	v_pk_add_f32 v[44:45], v[44:45], v[122:123]
	v_pk_mul_f32 v[50:51], v[110:111], s[54:55] op_sel_hi:[0,1]
	v_readlane_b32 s7, v202, 21
	v_pk_add_f32 v[44:45], v[130:131], v[44:45]
	v_readlane_b32 s10, v202, 22
	v_pk_fma_f32 v[62:63], v[104:105], s[6:7], v[50:51] op_sel:[1,0,0]
	v_readlane_b32 s11, v202, 23
	v_pk_add_f32 v[44:45], v[44:45], v[62:63]
	v_pk_mul_f32 v[62:63], v[108:109], s[92:93] op_sel_hi:[0,1]
	v_pk_fma_f32 v[38:39], v[54:55], s[78:79], v[38:39] op_sel:[1,0,0] neg_lo:[0,0,1] neg_hi:[0,0,1]
	v_pk_fma_f32 v[122:123], v[106:107], s[10:11], v[62:63] op_sel:[1,0,0]
	v_pk_fma_f32 v[40:41], v[88:89], s[80:81], v[40:41] op_sel:[1,0,0] neg_lo:[0,0,1] neg_hi:[0,0,1]
	v_pk_add_f32 v[38:39], v[38:39], v[64:65] op_sel:[0,1]
	v_pk_add_f32 v[122:123], v[122:123], v[44:45]
	v_pk_fma_f32 v[44:45], v[66:67], s[0:1], v[46:47] op_sel_hi:[0,1,1] neg_lo:[0,0,1] neg_hi:[0,0,1]
	v_pk_add_f32 v[38:39], v[40:41], v[38:39]
	v_pk_fma_f32 v[46:47], v[66:67], s[84:85], v[52:53] op_sel:[1,0,0] neg_lo:[0,0,1] neg_hi:[0,0,1]
	v_pk_add_f32 v[38:39], v[44:45], v[38:39]
	v_pk_fma_f32 v[52:53], v[118:119], s[2:3], v[120:121] op_sel:[1,0,0] neg_lo:[0,0,1] neg_hi:[0,0,1]
	v_pk_add_f32 v[38:39], v[38:39], v[46:47]
	v_pk_fma_f32 v[120:121], v[118:119], s[8:9], v[128:129] op_sel_hi:[0,1,1] neg_lo:[0,0,1] neg_hi:[0,0,1]
	v_pk_add_f32 v[38:39], v[38:39], v[52:53]
	v_pk_fma_f32 v[40:41], v[104:105], s[6:7], v[50:51] op_sel:[1,0,0] neg_lo:[0,0,1] neg_hi:[0,0,1]
	v_pk_add_f32 v[38:39], v[120:121], v[38:39]
	v_readlane_b32 s0, v202, 28
	v_pk_add_f32 v[38:39], v[38:39], v[40:41]
	v_pk_fma_f32 v[40:41], v[106:107], s[10:11], v[62:63] op_sel:[1,0,0] neg_lo:[0,0,1] neg_hi:[0,0,1]
	v_readlane_b32 s1, v202, 29
	v_pk_add_f32 v[120:121], v[40:41], v[38:39]
	v_pk_mul_f32 v[46:47], v[114:115], s[38:39] op_sel_hi:[0,1]
	v_pk_mul_f32 v[38:39], v[56:57], s[0:1] op_sel:[1,0]
	v_readlane_b32 s0, v202, 26
	v_readlane_b32 s1, v202, 27
	v_pk_fma_f32 v[130:131], v[54:55], s[42:43], v[38:39] op_sel:[1,0,0]
	v_pk_fma_f32 v[50:51], v[66:67], s[44:45], v[46:47] op_sel_hi:[0,1,1]
	v_pk_mul_f32 v[40:41], v[56:57], s[0:1] op_sel_hi:[0,1]
	v_readlane_b32 s0, v202, 14
	v_readlane_b32 s1, v202, 15
	v_pk_add_f32 v[130:131], v[130:131], v[64:65] op_sel:[0,1]
	v_pk_mul_f32 v[52:53], v[114:115], s[64:65] op_sel:[1,0]
	v_pk_fma_f32 v[44:45], v[88:89], s[0:1], v[40:41] op_sel:[1,0,0]
	v_pk_fma_f32 v[56:57], v[66:67], s[48:49], v[52:53] op_sel:[1,0,0]
	v_pk_add_f32 v[44:45], v[44:45], v[130:131]
	v_pk_mul_f32 v[62:63], v[116:117], s[74:75] op_sel:[1,0]
	v_pk_add_f32 v[44:45], v[50:51], v[44:45]
	v_pk_fma_f32 v[114:115], v[118:119], s[40:41], v[62:63] op_sel:[1,0,0]
	v_pk_mul_f32 v[116:117], v[116:117], s[52:53] op_sel_hi:[0,1]
	v_pk_add_f32 v[44:45], v[44:45], v[56:57]
	v_pk_fma_f32 v[128:129], v[118:119], s[66:67], v[116:117] op_sel_hi:[0,1,1]
	v_pk_add_f32 v[44:45], v[44:45], v[114:115]
	v_pk_mul_f32 v[50:51], v[110:111], s[50:51] op_sel_hi:[0,1]
	v_pk_add_f32 v[44:45], v[128:129], v[44:45]
	v_pk_fma_f32 v[56:57], v[104:105], s[46:47], v[50:51] op_sel:[1,0,0]
	v_pk_fma_f32 v[38:39], v[54:55], s[42:43], v[38:39] op_sel:[1,0,0] neg_lo:[0,0,1] neg_hi:[0,0,1]
	v_pk_add_f32 v[44:45], v[44:45], v[56:57]
	v_pk_mul_f32 v[56:57], v[108:109], s[4:5] op_sel_hi:[0,1]
	v_pk_fma_f32 v[110:111], v[106:107], s[68:69], v[56:57] op_sel:[1,0,0]
	v_pk_fma_f32 v[40:41], v[88:89], s[0:1], v[40:41] op_sel:[1,0,0] neg_lo:[0,0,1] neg_hi:[0,0,1]
	v_pk_add_f32 v[38:39], v[38:39], v[64:65] op_sel:[0,1]
	v_pk_add_f32 v[110:111], v[110:111], v[44:45]
	v_pk_fma_f32 v[44:45], v[66:67], s[44:45], v[46:47] op_sel_hi:[0,1,1] neg_lo:[0,0,1] neg_hi:[0,0,1]
	v_pk_add_f32 v[38:39], v[40:41], v[38:39]
	v_pk_fma_f32 v[46:47], v[66:67], s[48:49], v[52:53] op_sel:[1,0,0] neg_lo:[0,0,1] neg_hi:[0,0,1]
	v_pk_add_f32 v[38:39], v[44:45], v[38:39]
	v_pk_fma_f32 v[52:53], v[118:119], s[40:41], v[62:63] op_sel:[1,0,0] neg_lo:[0,0,1] neg_hi:[0,0,1]
	v_pk_add_f32 v[38:39], v[38:39], v[46:47]
	v_sub_f32_e32 v8, v150, v151
	v_pk_fma_f32 v[62:63], v[118:119], s[66:67], v[116:117] op_sel_hi:[0,1,1] neg_lo:[0,0,1] neg_hi:[0,0,1]
	v_pk_add_f32 v[38:39], v[38:39], v[52:53]
	v_sub_f32_e32 v10, v138, v139
	v_add_f32_e32 v2, v2, v8
	v_pk_add_f32 v[38:39], v[62:63], v[38:39]
	v_pk_fma_f32 v[40:41], v[104:105], s[46:47], v[50:51] op_sel:[1,0,0] neg_lo:[0,0,1] neg_hi:[0,0,1]
	v_add_f32_e32 v0, v10, v2
	v_sub_f32_e32 v2, v146, v147
	v_pk_add_f32 v[38:39], v[38:39], v[40:41]
	v_pk_fma_f32 v[40:41], v[106:107], s[68:69], v[56:57] op_sel:[1,0,0] neg_lo:[0,0,1] neg_hi:[0,0,1]
	v_pk_add_f32 v[42:43], v[140:141], v[42:43]
	v_add_f32_e32 v0, v0, v2
	v_sub_f32_e32 v2, v156, v157
	v_pk_add_f32 v[64:65], v[40:41], v[38:39]
	v_mul_f32_e32 v38, 0x3dbcf732, v107
	v_mul_f32_e32 v60, 0x3f7ee86f, v108
	v_mov_b32_e32 v39, v48
	v_add_f32_e32 v2, v2, v0
	v_pk_add_f32 v[40:41], v[38:39], v[60:61]
	v_mov_b32_e32 v44, v42
	v_mov_b32_e32 v45, v38
	;; [unrolled: 1-line block ×4, first 2 shown]
	v_pk_add_f32 v[42:43], v[42:43], v[58:59]
	v_lshlrev_b32_e32 v58, 2, v126
	v_lshlrev_b32_e32 v0, 2, v124
	v_pk_add_f32 v[38:39], v[44:45], v[38:39] neg_lo:[0,1] neg_hi:[0,1]
	v_add3_u32 v63, 0, v0, v58
	v_mov_b32_e32 v43, v39
	v_add3_u32 v62, 0, v58, v0
	v_add_u32_e32 v61, 0x200, v63
	v_add_u32_e32 v60, 0x400, v63
	v_pk_add_f32 v[66:67], v[40:41], v[42:43]
	s_waitcnt lgkmcnt(0)
	s_barrier
	ds_read_b32 v59, v62
	ds_read2_b32 v[56:57], v63 offset0:119 offset1:136
	ds_read2_b32 v[44:45], v63 offset0:221 offset1:238
	;; [unrolled: 1-line block ×10, first 2 shown]
	s_waitcnt lgkmcnt(0)
	s_barrier
	ds_write2_b32 v125, v70, v71 offset1:1
	ds_write2_b32 v125, v72, v73 offset0:2 offset1:3
	ds_write2_b32 v125, v122, v123 offset0:4 offset1:5
	;; [unrolled: 1-line block ×6, first 2 shown]
	v_mov_b32_e32 v0, v113
	ds_write2_b32 v125, v113, v112 offset0:14 offset1:15
	ds_write_b32 v125, v2 offset:64
	s_and_saveexec_b64 s[0:1], vcc
	s_cbranch_execz .LBB0_18
; %bb.17:
	v_mov_b32_e32 v2, v1
	v_pk_add_f32 v[0:1], v[2:3], v[4:5]
	s_mov_b32 s6, 0x3f3d2fb0
	v_pk_add_f32 v[0:1], v[0:1], v[36:37]
	s_mov_b32 s7, 0xbf2c7751
	;; [unrolled: 2-line block ×4, first 2 shown]
	v_pk_add_f32 v[0:1], v[0:1], v[30:31]
	v_mov_b32_e32 v30, v69
	v_mov_b32_e32 v31, v100
	v_pk_mul_f32 v[34:35], v[30:31], s[6:7]
	s_mov_b32 s11, 0xbf7ee86f
	v_mov_b32_e32 v37, v34
	v_pk_fma_f32 v[64:65], v[30:31], s[6:7], v[36:37]
	v_mov_b32_e32 v30, v79
	v_mov_b32_e32 v31, v102
	v_sub_f32_e32 v108, v34, v35
	v_pk_mul_f32 v[34:35], v[30:31], s[2:3]
	s_mov_b32 s10, 0x3dbcf732
	v_mov_b32_e32 v37, v34
	v_pk_fma_f32 v[66:67], v[30:31], s[2:3], v[36:37]
	v_mov_b32_e32 v30, v83
	v_mov_b32_e32 v31, v96
	v_sub_f32_e32 v109, v34, v35
	v_pk_mul_f32 v[34:35], v[30:31], s[10:11]
	s_mov_b32 s16, 0xbe8c1d8e
	v_mov_b32_e32 v37, v34
	v_pk_fma_f32 v[70:71], v[30:31], s[10:11], v[36:37]
	v_mov_b32_e32 v30, v85
	v_mov_b32_e32 v31, v94
	s_mov_b32 s17, 0xbf763a35
	v_sub_f32_e32 v110, v34, v35
	v_pk_mul_f32 v[34:35], v[30:31], s[16:17]
	s_mov_b32 s18, 0xbf1a4643
	v_mov_b32_e32 v37, v34
	v_pk_fma_f32 v[72:73], v[30:31], s[16:17], v[36:37]
	s_mov_b32 s19, 0xbf4c4adb
	v_mov_b32_e32 v30, v87
	v_mov_b32_e32 v31, v92
	v_sub_f32_e32 v111, v34, v35
	v_pk_mul_f32 v[34:35], v[30:31], s[18:19]
	v_mov_b32_e32 v4, v1
	v_mov_b32_e32 v37, v34
	;; [unrolled: 1-line block ×3, first 2 shown]
	v_pk_fma_f32 v[88:89], v[30:31], s[18:19], v[36:37]
	v_pk_add_f32 v[36:37], v[4:5], v[12:13]
	v_mov_b32_e32 v5, 0x3f6eb680
	v_mov_b32_e32 v4, v23
	v_pk_add_f32 v[106:107], v[36:37], v[4:5]
	v_pk_mul_f32 v[4:5], v[36:37], v[4:5]
	v_mul_f32_e32 v33, 0xbeb8f4ab, v98
	v_mov_b32_e32 v107, v5
	v_fmac_f32_e32 v5, 0x3eb8f4ab, v98
	v_add_f32_e32 v1, v3, v5
	v_add_f32_e32 v1, v1, v108
	s_mov_b32 s14, 0xbf59a7d5
	v_mov_b32_e32 v32, v11
	v_add_f32_e32 v1, v1, v109
	s_mov_b32 s15, 0xbf06c442
	v_sub_f32_e32 v112, v34, v35
	v_mov_b32_e32 v34, v81
	v_mov_b32_e32 v35, v90
	v_pk_add_f32 v[32:33], v[106:107], v[32:33]
	v_add_f32_e32 v1, v1, v110
	v_pk_mul_f32 v[104:105], v[34:35], s[14:15]
	v_pk_add_f32 v[32:33], v[32:33], v[2:3]
	v_mov_b32_e32 v64, v9
	v_add_f32_e32 v1, v1, v111
	s_mov_b32 s4, 0xbf7ba420
	v_pk_add_f32 v[32:33], v[64:65], v[32:33]
	v_mov_b32_e32 v66, v7
	v_add_f32_e32 v1, v1, v112
	v_sub_f32_e32 v4, v104, v105
	s_mov_b32 s5, 0xbe3c28d5
	v_pk_add_f32 v[32:33], v[66:67], v[32:33]
	v_mov_b32_e32 v70, v21
	v_add_f32_e32 v7, v1, v4
	v_mov_b32_e32 v4, v75
	v_mov_b32_e32 v5, v76
	v_mul_f32_e32 v30, 0x3f65296c, v92
	v_mov_b32_e32 v31, v104
	v_pk_add_f32 v[32:33], v[70:71], v[32:33]
	v_mov_b32_e32 v72, v19
	v_pk_mul_f32 v[66:67], v[4:5], s[4:5]
	v_mul_f32_e32 v0, 0xbe3c28d5, v98
	v_pk_fma_f32 v[34:35], v[34:35], s[14:15], v[30:31]
	v_pk_add_f32 v[32:33], v[72:73], v[32:33]
	v_mov_b32_e32 v88, v17
	v_mov_b32_e32 v1, v66
	v_pk_add_f32 v[32:33], v[88:89], v[32:33]
	v_mov_b32_e32 v34, v15
	v_pk_fma_f32 v[4:5], v[4:5], s[4:5], v[0:1]
	v_pk_add_f32 v[64:65], v[34:35], v[32:33]
	v_mov_b32_e32 v4, v13
	s_mov_b32 s26, s7
	s_mov_b32 s27, s3
	v_pk_add_f32 v[4:5], v[4:5], v[64:65]
	v_pk_mul_f32 v[64:65], v[98:99], s[26:27] op_sel_hi:[0,1]
	s_mov_b32 s26, s11
	s_mov_b32 s27, s19
	;; [unrolled: 1-line block ×4, first 2 shown]
	v_sub_f32_e32 v1, v66, v67
	s_mov_b32 s28, s10
	s_mov_b32 s29, s18
	v_pk_mul_f32 v[66:67], v[100:101], s[26:27] op_sel_hi:[0,1]
	s_mov_b32 s27, 0x3e3c28d5
	s_mov_b32 s26, s19
	v_pk_fma_f32 v[116:117], v[36:37], s[38:39], v[64:65] op_sel:[1,0,0]
	v_pk_fma_f32 v[70:71], v[68:69], s[28:29], v[66:67] op_sel:[1,0,0]
	s_mov_b32 s30, s18
	s_mov_b32 s31, s4
	v_pk_mul_f32 v[72:73], v[102:103], s[26:27] op_sel_hi:[0,1]
	s_mov_b32 s27, 0x3f763a35
	s_mov_b32 s26, s5
	v_pk_add_f32 v[116:117], v[2:3], v[116:117] op_sel:[1,0]
	s_mov_b32 s21, 0x3f2c7751
	v_pk_fma_f32 v[88:89], v[78:79], s[30:31], v[72:73] op_sel:[1,0,0]
	s_mov_b32 s34, s4
	s_mov_b32 s35, s16
	v_pk_mul_f32 v[104:105], v[96:97], s[26:27] op_sel_hi:[0,1]
	s_mov_b32 s20, 0x3f06c442
	v_pk_add_f32 v[70:71], v[116:117], v[70:71]
	s_mov_b32 s9, 0xbeb8f4ab
	v_pk_fma_f32 v[106:107], v[82:83], s[34:35], v[104:105] op_sel:[1,0,0]
	s_mov_b32 s36, s14
	s_mov_b32 s37, s6
	v_pk_mul_f32 v[108:109], v[94:95], s[20:21] op_sel_hi:[0,1]
	s_mov_b32 s8, s27
	v_pk_add_f32 v[70:71], v[70:71], v[88:89]
	s_mov_b32 s13, 0x3f6eb680
	s_mov_b32 s22, 0x3f65296c
	v_pk_fma_f32 v[110:111], v[84:85], s[36:37], v[108:109] op_sel:[1,0,0]
	s_mov_b32 s12, s16
	v_pk_mul_f32 v[112:113], v[92:93], s[8:9] op_sel_hi:[0,1]
	v_pk_add_f32 v[70:71], v[70:71], v[106:107]
	s_mov_b32 s23, s11
	v_pk_fma_f32 v[64:65], v[36:37], s[38:39], v[64:65] op_sel:[1,0,0] neg_lo:[0,0,1] neg_hi:[0,0,1]
	v_pk_fma_f32 v[114:115], v[86:87], s[12:13], v[112:113] op_sel:[1,0,0]
	v_pk_add_f32 v[70:71], v[70:71], v[110:111]
	s_mov_b32 s40, s2
	s_mov_b32 s41, s10
	v_pk_mul_f32 v[88:89], v[90:91], s[22:23] op_sel_hi:[0,1]
	v_pk_fma_f32 v[66:67], v[68:69], s[28:29], v[66:67] op_sel:[1,0,0] neg_lo:[0,0,1] neg_hi:[0,0,1]
	v_pk_add_f32 v[64:65], v[2:3], v[64:65] op_sel:[1,0]
	s_mov_b32 s24, 0x3eb8f4ab
	v_pk_add_f32 v[70:71], v[70:71], v[114:115]
	v_pk_fma_f32 v[106:107], v[80:81], s[40:41], v[88:89] op_sel:[1,0,0]
	s_mov_b32 s25, s15
	v_pk_fma_f32 v[72:73], v[78:79], s[30:31], v[72:73] op_sel:[1,0,0] neg_lo:[0,0,1] neg_hi:[0,0,1]
	v_pk_add_f32 v[64:65], v[64:65], v[66:67]
	v_pk_add_f32 v[70:71], v[70:71], v[106:107]
	s_mov_b32 s42, s13
	s_mov_b32 s43, s14
	v_pk_mul_f32 v[106:107], v[76:77], s[24:25] op_sel_hi:[0,1]
	v_pk_fma_f32 v[104:105], v[82:83], s[34:35], v[104:105] op_sel:[1,0,0] neg_lo:[0,0,1] neg_hi:[0,0,1]
	v_pk_add_f32 v[64:65], v[64:65], v[72:73]
	v_pk_fma_f32 v[110:111], v[74:75], s[42:43], v[106:107] op_sel:[1,0,0]
	v_pk_fma_f32 v[108:109], v[84:85], s[36:37], v[108:109] op_sel:[1,0,0] neg_lo:[0,0,1] neg_hi:[0,0,1]
	v_pk_add_f32 v[64:65], v[64:65], v[104:105]
	v_pk_add_f32 v[70:71], v[70:71], v[110:111]
	v_pk_fma_f32 v[110:111], v[86:87], s[12:13], v[112:113] op_sel:[1,0,0] neg_lo:[0,0,1] neg_hi:[0,0,1]
	v_pk_add_f32 v[64:65], v[64:65], v[108:109]
	v_pk_fma_f32 v[66:67], v[80:81], s[40:41], v[88:89] op_sel:[1,0,0] neg_lo:[0,0,1] neg_hi:[0,0,1]
	v_pk_add_f32 v[64:65], v[64:65], v[110:111]
	s_mov_b32 s28, s11
	v_pk_add_f32 v[64:65], v[64:65], v[66:67]
	v_pk_fma_f32 v[66:67], v[74:75], s[42:43], v[106:107] op_sel:[1,0,0] neg_lo:[0,0,1] neg_hi:[0,0,1]
	s_mov_b32 s29, s17
	v_pk_add_f32 v[64:65], v[64:65], v[66:67]
	v_pk_mul_f32 v[66:67], v[98:99], s[28:29] op_sel_hi:[0,1]
	s_mov_b32 s30, s5
	s_mov_b32 s31, s20
	s_mov_b32 s40, s10
	s_mov_b32 s41, s16
	s_mov_b32 s28, s4
	s_mov_b32 s29, s14
	v_pk_mul_f32 v[72:73], v[100:101], s[30:31] op_sel_hi:[0,1]
	s_mov_b32 s20, s27
	v_pk_fma_f32 v[120:121], v[36:37], s[40:41], v[66:67] op_sel:[1,0,0]
	v_pk_fma_f32 v[88:89], v[68:69], s[28:29], v[72:73] op_sel:[1,0,0]
	s_mov_b32 s30, s16
	s_mov_b32 s31, s6
	v_pk_mul_f32 v[104:105], v[102:103], s[20:21] op_sel_hi:[0,1]
	s_mov_b32 s25, s3
	v_pk_add_f32 v[120:121], v[2:3], v[120:121] op_sel:[1,0]
	v_pk_fma_f32 v[106:107], v[78:79], s[30:31], v[104:105] op_sel:[1,0,0]
	s_mov_b32 s34, s13
	s_mov_b32 s35, s2
	v_pk_mul_f32 v[108:109], v[96:97], s[24:25] op_sel_hi:[0,1]
	s_mov_b32 s36, s3
	s_mov_b32 s37, s5
	v_pk_add_f32 v[88:89], v[120:121], v[88:89]
	v_pk_fma_f32 v[110:111], v[82:83], s[34:35], v[108:109] op_sel:[1,0,0]
	s_mov_b32 s24, s2
	s_mov_b32 s25, s4
	v_pk_mul_f32 v[112:113], v[94:95], s[36:37] op_sel_hi:[0,1]
	s_mov_b32 s39, 0x3f7ee86f
	s_mov_b32 s38, s15
	v_pk_add_f32 v[88:89], v[88:89], v[106:107]
	v_pk_fma_f32 v[114:115], v[84:85], s[24:25], v[112:113] op_sel:[1,0,0]
	s_mov_b32 s36, s14
	s_mov_b32 s37, s10
	v_pk_mul_f32 v[116:117], v[92:93], s[38:39] op_sel_hi:[0,1]
	v_pk_add_f32 v[88:89], v[88:89], v[110:111]
	s_mov_b32 s8, 0x3f4c4adb
	v_pk_fma_f32 v[66:67], v[36:37], s[40:41], v[66:67] op_sel:[1,0,0] neg_lo:[0,0,1] neg_hi:[0,0,1]
	v_pk_fma_f32 v[118:119], v[86:87], s[36:37], v[116:117] op_sel:[1,0,0]
	v_pk_add_f32 v[88:89], v[88:89], v[114:115]
	s_mov_b32 s12, s18
	v_pk_mul_f32 v[106:107], v[90:91], s[8:9] op_sel_hi:[0,1]
	v_pk_fma_f32 v[72:73], v[68:69], s[28:29], v[72:73] op_sel:[1,0,0] neg_lo:[0,0,1] neg_hi:[0,0,1]
	v_pk_add_f32 v[66:67], v[2:3], v[66:67] op_sel:[1,0]
	v_pk_add_f32 v[88:89], v[88:89], v[118:119]
	v_pk_fma_f32 v[110:111], v[80:81], s[12:13], v[106:107] op_sel:[1,0,0]
	s_mov_b32 s44, s21
	s_mov_b32 s45, s19
	v_pk_fma_f32 v[104:105], v[78:79], s[30:31], v[104:105] op_sel:[1,0,0] neg_lo:[0,0,1] neg_hi:[0,0,1]
	v_pk_add_f32 v[66:67], v[66:67], v[72:73]
	v_pk_add_f32 v[88:89], v[88:89], v[110:111]
	s_mov_b32 s42, s6
	s_mov_b32 s43, s18
	v_pk_mul_f32 v[110:111], v[76:77], s[44:45] op_sel_hi:[0,1]
	v_pk_fma_f32 v[108:109], v[82:83], s[34:35], v[108:109] op_sel:[1,0,0] neg_lo:[0,0,1] neg_hi:[0,0,1]
	v_pk_add_f32 v[66:67], v[66:67], v[104:105]
	v_pk_fma_f32 v[114:115], v[74:75], s[42:43], v[110:111] op_sel:[1,0,0]
	v_pk_fma_f32 v[112:113], v[84:85], s[24:25], v[112:113] op_sel:[1,0,0] neg_lo:[0,0,1] neg_hi:[0,0,1]
	v_pk_add_f32 v[66:67], v[66:67], v[108:109]
	v_pk_add_f32 v[88:89], v[88:89], v[114:115]
	v_pk_fma_f32 v[114:115], v[86:87], s[36:37], v[116:117] op_sel:[1,0,0] neg_lo:[0,0,1] neg_hi:[0,0,1]
	v_pk_add_f32 v[66:67], v[66:67], v[112:113]
	v_pk_fma_f32 v[72:73], v[80:81], s[12:13], v[106:107] op_sel:[1,0,0] neg_lo:[0,0,1] neg_hi:[0,0,1]
	v_pk_add_f32 v[66:67], v[66:67], v[114:115]
	s_mov_b32 s24, s19
	v_pk_add_f32 v[66:67], v[66:67], v[72:73]
	v_pk_fma_f32 v[72:73], v[74:75], s[42:43], v[110:111] op_sel:[1,0,0] neg_lo:[0,0,1] neg_hi:[0,0,1]
	s_mov_b32 s25, s15
	v_pk_add_f32 v[66:67], v[66:67], v[72:73]
	v_pk_mul_f32 v[72:73], v[98:99], s[24:25] op_sel_hi:[0,1]
	s_mov_b32 s26, s27
	s_mov_b32 s27, s22
	;; [unrolled: 1-line block ×5, first 2 shown]
	v_pk_mul_f32 v[98:99], v[100:101], s[26:27] op_sel_hi:[0,1]
	s_mov_b32 s28, s9
	s_mov_b32 s29, s11
	v_pk_fma_f32 v[112:113], v[36:37], s[18:19], v[72:73] op_sel:[1,0,0]
	v_mul_f32_e32 v8, 0x3eb8f4ab, v100
	v_mul_f32_e32 v14, 0xbf06c442, v102
	;; [unrolled: 1-line block ×3, first 2 shown]
	v_pk_fma_f32 v[100:101], v[68:69], s[24:25], v[98:99] op_sel:[1,0,0]
	s_mov_b32 s26, s13
	s_mov_b32 s27, s10
	v_pk_mul_f32 v[102:103], v[102:103], s[28:29] op_sel_hi:[0,1]
	s_mov_b32 s30, s15
	s_mov_b32 s31, s8
	v_pk_add_f32 v[112:113], v[2:3], v[112:113] op_sel:[1,0]
	v_pk_fma_f32 v[36:37], v[36:37], s[18:19], v[72:73] op_sel:[1,0,0] neg_lo:[0,0,1] neg_hi:[0,0,1]
	v_mul_f32_e32 v6, 0x3f6eb680, v69
	v_mul_f32_e32 v18, 0x3f2c7751, v96
	v_pk_fma_f32 v[104:105], v[78:79], s[26:27], v[102:103] op_sel:[1,0,0]
	s_mov_b32 s28, s14
	s_mov_b32 s29, s18
	v_pk_mul_f32 v[96:97], v[96:97], s[30:31] op_sel_hi:[0,1]
	s_mov_b32 s8, s39
	v_pk_add_f32 v[100:101], v[112:113], v[100:101]
	v_pk_fma_f32 v[68:69], v[68:69], s[24:25], v[98:99] op_sel:[1,0,0] neg_lo:[0,0,1] neg_hi:[0,0,1]
	v_pk_add_f32 v[36:37], v[2:3], v[36:37] op_sel:[1,0]
	v_mul_f32_e32 v10, 0xbf59a7d5, v79
	v_mul_f32_e32 v22, 0xbf4c4adb, v94
	v_pk_fma_f32 v[106:107], v[82:83], s[28:29], v[96:97] op_sel:[1,0,0]
	s_mov_b32 s11, s13
	v_pk_mul_f32 v[94:95], v[94:95], s[8:9] op_sel_hi:[0,1]
	s_mov_b32 s12, s7
	s_mov_b32 s13, s5
	v_pk_add_f32 v[100:101], v[100:101], v[104:105]
	v_pk_fma_f32 v[78:79], v[78:79], s[26:27], v[102:103] op_sel:[1,0,0] neg_lo:[0,0,1] neg_hi:[0,0,1]
	v_pk_add_f32 v[36:37], v[36:37], v[68:69]
	v_mul_f32_e32 v16, 0x3f3d2fb0, v83
	v_pk_fma_f32 v[108:109], v[84:85], s[10:11], v[94:95] op_sel:[1,0,0]
	s_mov_b32 s8, s6
	s_mov_b32 s9, s4
	v_pk_mul_f32 v[92:93], v[92:93], s[12:13] op_sel_hi:[0,1]
	v_pk_add_f32 v[100:101], v[100:101], v[106:107]
	s_mov_b32 s20, s5
	v_pk_fma_f32 v[82:83], v[82:83], s[28:29], v[96:97] op_sel:[1,0,0] neg_lo:[0,0,1] neg_hi:[0,0,1]
	v_pk_add_f32 v[36:37], v[36:37], v[78:79]
	v_mul_f32_e32 v20, 0xbf1a4643, v85
	v_mul_f32_e32 v32, 0xbf763a35, v90
	v_pk_fma_f32 v[110:111], v[86:87], s[8:9], v[92:93] op_sel:[1,0,0]
	v_pk_add_f32 v[100:101], v[100:101], v[108:109]
	s_mov_b32 s12, s4
	s_mov_b32 s13, s6
	v_pk_mul_f32 v[90:91], v[90:91], s[20:21] op_sel_hi:[0,1]
	v_pk_fma_f32 v[84:85], v[84:85], s[10:11], v[94:95] op_sel:[1,0,0] neg_lo:[0,0,1] neg_hi:[0,0,1]
	v_pk_add_f32 v[36:37], v[36:37], v[82:83]
	v_mul_f32_e32 v28, 0x3ee437d1, v87
	v_pk_add_f32 v[100:101], v[100:101], v[110:111]
	v_pk_fma_f32 v[104:105], v[80:81], s[12:13], v[90:91] op_sel:[1,0,0]
	s_mov_b32 s23, s17
	v_pk_fma_f32 v[86:87], v[86:87], s[8:9], v[92:93] op_sel:[1,0,0] neg_lo:[0,0,1] neg_hi:[0,0,1]
	v_pk_add_f32 v[36:37], v[36:37], v[84:85]
	v_pk_add_f32 v[100:101], v[100:101], v[104:105]
	s_mov_b32 s3, s16
	v_pk_mul_f32 v[104:105], v[76:77], s[22:23] op_sel_hi:[0,1]
	v_pk_add_f32 v[36:37], v[36:37], v[86:87]
	v_pk_fma_f32 v[68:69], v[80:81], s[12:13], v[90:91] op_sel:[1,0,0] neg_lo:[0,0,1] neg_hi:[0,0,1]
	v_add_f32_e32 v13, v7, v1
	v_pk_add_f32 v[36:37], v[36:37], v[68:69]
	v_pk_fma_f32 v[68:69], v[74:75], s[2:3], v[104:105] op_sel:[1,0,0] neg_lo:[0,0,1] neg_hi:[0,0,1]
	v_pk_fma_f32 v[106:107], v[74:75], s[2:3], v[104:105] op_sel:[1,0,0]
	v_pk_add_f32 v[36:37], v[36:37], v[68:69]
	v_mul_f32_e32 v68, 0x3dbcf732, v75
	v_pk_add_f32 v[74:75], v[6:7], v[8:9]
	v_pk_add_f32 v[6:7], v[6:7], v[8:9] neg_lo:[0,1] neg_hi:[0,1]
	v_pk_add_f32 v[8:9], v[10:11], v[14:15] neg_lo:[0,1] neg_hi:[0,1]
	v_mov_b32_e32 v75, v6
	v_pk_add_f32 v[6:7], v[10:11], v[14:15]
	v_pk_add_f32 v[10:11], v[16:17], v[18:19] neg_lo:[0,1] neg_hi:[0,1]
	v_mov_b32_e32 v7, v8
	v_pk_add_f32 v[8:9], v[16:17], v[18:19]
	;; [unrolled: 3-line block ×4, first 2 shown]
	v_mul_f32_e32 v12, 0xbe8c1d8e, v81
	v_mov_b32_e32 v15, v16
	v_pk_add_f32 v[16:17], v[34:35], v[0:1]
	v_pk_add_f32 v[0:1], v[34:35], v[0:1] neg_lo:[0,1] neg_hi:[0,1]
	v_mul_f32_e32 v72, 0x3f7ee86f, v76
	v_mov_b32_e32 v17, v0
	v_pk_add_f32 v[0:1], v[2:3], v[16:17] op_sel:[1,0]
	v_pk_add_f32 v[2:3], v[12:13], v[32:33]
	v_pk_add_f32 v[0:1], v[0:1], v[74:75]
	;; [unrolled: 1-line block ×4, first 2 shown]
	v_pk_add_f32 v[6:7], v[12:13], v[32:33] neg_lo:[0,1] neg_hi:[0,1]
	v_pk_add_f32 v[0:1], v[0:1], v[8:9]
	v_mov_b32_e32 v3, v6
	v_pk_add_f32 v[0:1], v[0:1], v[10:11]
	v_pk_add_f32 v[6:7], v[68:69], v[72:73] neg_lo:[0,1] neg_hi:[0,1]
	v_pk_add_f32 v[0:1], v[0:1], v[14:15]
	s_nop 0
	v_pk_add_f32 v[0:1], v[0:1], v[2:3]
	v_pk_add_f32 v[2:3], v[68:69], v[72:73]
	s_nop 0
	v_mov_b32_e32 v3, v6
	v_pk_add_f32 v[0:1], v[0:1], v[2:3]
	v_add_u32_e32 v2, 17, v124
	v_mul_u32_u24_e32 v2, 0x44, v2
	v_add3_u32 v2, 0, v2, v58
	ds_write2_b32 v2, v4, v5 offset1:1
	ds_write2_b32 v2, v70, v71 offset0:2 offset1:3
	ds_write2_b32 v2, v88, v89 offset0:4 offset1:5
	;; [unrolled: 1-line block ×7, first 2 shown]
	ds_write_b32 v2, v13 offset:64
.LBB0_18:
	s_or_b64 exec, exec, s[0:1]
	v_readlane_b32 s4, v202, 6
	v_lshlrev_b32_e32 v8, 1, v124
	v_mov_b32_e32 v9, 0
	v_readlane_b32 s5, v202, 7
	s_movk_i32 s0, 0xf1
	s_waitcnt lgkmcnt(0)
	v_lshl_add_u64 v[0:1], v[8:9], 3, s[4:5]
	v_add_u32_e32 v8, 34, v124
	s_barrier
	global_load_dwordx4 v[10:13], v[0:1], off
	v_mul_lo_u16_sdwa v0, v8, s0 dst_sel:DWORD dst_unused:UNUSED_PAD src0_sel:BYTE_0 src1_sel:DWORD
	v_lshrrev_b16_e32 v0, 12, v0
	v_mul_lo_u16_e32 v0, 17, v0
	v_sub_u16_e32 v76, v8, v0
	v_mov_b32_e32 v0, 4
	v_lshlrev_b32_sdwa v1, v0, v76 dst_sel:DWORD dst_unused:UNUSED_PAD src0_sel:DWORD src1_sel:BYTE_0
	global_load_dwordx4 v[14:17], v1, s[4:5]
	v_add_u16_e32 v1, 51, v124
	v_mul_lo_u16_sdwa v2, v1, s0 dst_sel:DWORD dst_unused:UNUSED_PAD src0_sel:BYTE_0 src1_sel:DWORD
	v_lshrrev_b16_e32 v2, 12, v2
	v_mul_lo_u16_e32 v2, 17, v2
	v_sub_u16_e32 v77, v1, v2
	v_add_u16_e32 v2, 0x44, v124
	v_mul_lo_u16_sdwa v3, v2, s0 dst_sel:DWORD dst_unused:UNUSED_PAD src0_sel:BYTE_0 src1_sel:DWORD
	v_lshlrev_b32_sdwa v1, v0, v77 dst_sel:DWORD dst_unused:UNUSED_PAD src0_sel:DWORD src1_sel:BYTE_0
	v_lshrrev_b16_e32 v3, 12, v3
	global_load_dwordx4 v[18:21], v1, s[4:5]
	v_mul_lo_u16_e32 v1, 17, v3
	v_sub_u16_e32 v78, v2, v1
	v_lshlrev_b32_sdwa v1, v0, v78 dst_sel:DWORD dst_unused:UNUSED_PAD src0_sel:DWORD src1_sel:BYTE_0
	global_load_dwordx4 v[28:31], v1, s[4:5]
	v_add_u16_e32 v1, 0x55, v124
	v_mul_lo_u16_sdwa v2, v1, s0 dst_sel:DWORD dst_unused:UNUSED_PAD src0_sel:BYTE_0 src1_sel:DWORD
	v_lshrrev_b16_e32 v2, 12, v2
	v_mul_lo_u16_e32 v2, 17, v2
	v_sub_u16_e32 v79, v1, v2
	v_lshlrev_b32_sdwa v1, v0, v79 dst_sel:DWORD dst_unused:UNUSED_PAD src0_sel:DWORD src1_sel:BYTE_0
	global_load_dwordx4 v[32:35], v1, s[4:5]
	v_add_u16_e32 v1, 0x66, v124
	v_mul_lo_u16_sdwa v2, v1, s0 dst_sel:DWORD dst_unused:UNUSED_PAD src0_sel:BYTE_0 src1_sel:DWORD
	v_lshrrev_b16_e32 v2, 12, v2
	v_mul_lo_u16_e32 v2, 17, v2
	v_sub_u16_e32 v80, v1, v2
	v_lshlrev_b32_sdwa v0, v0, v80 dst_sel:DWORD dst_unused:UNUSED_PAD src0_sel:DWORD src1_sel:BYTE_0
	global_load_dwordx4 v[64:67], v0, s[4:5]
	ds_read_b32 v81, v62
	ds_read2_b32 v[6:7], v63 offset0:119 offset1:136
	ds_read2_b32 v[22:23], v63 offset0:221 offset1:238
	;; [unrolled: 1-line block ×10, first 2 shown]
	s_waitcnt lgkmcnt(0)
	s_barrier
	v_readlane_b32 s2, v202, 10
	v_readlane_b32 s3, v202, 11
	;; [unrolled: 1-line block ×4, first 2 shown]
	s_waitcnt vmcnt(5)
	v_mul_f32_e32 v82, v6, v11
	v_mul_f32_e32 v83, v56, v11
	;; [unrolled: 1-line block ×8, first 2 shown]
	v_fma_f32 v56, v56, v10, -v82
	v_fmac_f32_e32 v83, v6, v10
	v_fma_f32 v6, v45, v12, -v84
	v_fmac_f32_e32 v85, v23, v12
	;; [unrolled: 2-line block ×4, first 2 shown]
	s_waitcnt vmcnt(4)
	v_mul_f32_e32 v10, v68, v15
	v_mul_f32_e32 v12, v52, v15
	v_mul_f32_e32 v15, v37, v17
	v_mul_f32_e32 v17, v55, v17
	s_waitcnt vmcnt(3)
	v_mul_f32_e32 v45, v70, v21
	v_mul_f32_e32 v21, v50, v21
	;; [unrolled: 1-line block ×4, first 2 shown]
	s_waitcnt vmcnt(2)
	v_mul_f32_e32 v54, v72, v29
	v_fma_f32 v10, v52, v14, -v10
	v_fmac_f32_e32 v12, v68, v14
	v_fma_f32 v14, v55, v16, -v15
	v_fmac_f32_e32 v17, v37, v16
	;; [unrolled: 2-line block ×3, first 2 shown]
	v_mul_f32_e32 v20, v48, v29
	v_fma_f32 v15, v53, v18, -v36
	v_fmac_f32_e32 v19, v69, v18
	v_fma_f32 v18, v48, v28, -v54
	v_fmac_f32_e32 v20, v72, v28
	v_mul_f32_e32 v28, v71, v31
	v_mul_f32_e32 v29, v51, v31
	v_fma_f32 v28, v51, v30, -v28
	v_fmac_f32_e32 v29, v71, v30
	s_waitcnt vmcnt(1)
	v_mul_f32_e32 v30, v73, v33
	v_mul_f32_e32 v31, v49, v33
	v_fma_f32 v30, v49, v32, -v30
	v_fmac_f32_e32 v31, v73, v32
	v_mul_f32_e32 v32, v74, v35
	v_mul_f32_e32 v33, v46, v35
	v_fma_f32 v32, v46, v34, -v32
	v_fmac_f32_e32 v33, v74, v34
	s_waitcnt vmcnt(0)
	v_mul_f32_e32 v34, v22, v65
	v_fma_f32 v34, v44, v64, -v34
	v_mul_f32_e32 v35, v44, v65
	v_add_f32_e32 v44, v56, v6
	v_fmac_f32_e32 v35, v22, v64
	v_mul_f32_e32 v22, v75, v67
	v_add_f32_e32 v37, v59, v56
	v_fmac_f32_e32 v59, -0.5, v44
	v_sub_f32_e32 v44, v83, v85
	v_add_f32_e32 v46, v83, v85
	v_fma_f32 v22, v47, v66, -v22
	v_mul_f32_e32 v36, v47, v67
	v_add_f32_e32 v37, v37, v6
	v_fmamk_f32 v45, v44, 0x3f5db3d7, v59
	v_fmac_f32_e32 v59, 0xbf5db3d7, v44
	v_add_f32_e32 v44, v81, v83
	v_fmac_f32_e32 v81, -0.5, v46
	v_sub_f32_e32 v6, v56, v6
	v_add_f32_e32 v47, v23, v7
	v_fmamk_f32 v46, v6, 0xbf5db3d7, v81
	v_fmac_f32_e32 v81, 0x3f5db3d7, v6
	v_add_f32_e32 v6, v42, v23
	v_fma_f32 v42, -0.5, v47, v42
	v_sub_f32_e32 v47, v11, v13
	v_fmamk_f32 v48, v47, 0x3f5db3d7, v42
	v_fmac_f32_e32 v42, 0xbf5db3d7, v47
	v_add_f32_e32 v47, v4, v11
	v_add_f32_e32 v11, v11, v13
	;; [unrolled: 1-line block ×4, first 2 shown]
	v_fma_f32 v4, -0.5, v11, v4
	v_sub_f32_e32 v7, v23, v7
	v_add_f32_e32 v13, v10, v14
	v_fmamk_f32 v11, v7, 0xbf5db3d7, v4
	v_fmac_f32_e32 v4, 0x3f5db3d7, v7
	v_add_f32_e32 v7, v43, v10
	v_fmac_f32_e32 v43, -0.5, v13
	v_sub_f32_e32 v13, v12, v17
	v_add_f32_e32 v7, v7, v14
	v_fmamk_f32 v23, v13, 0x3f5db3d7, v43
	v_fmac_f32_e32 v43, 0xbf5db3d7, v13
	v_add_f32_e32 v13, v5, v12
	v_add_f32_e32 v12, v12, v17
	v_sub_f32_e32 v10, v10, v14
	v_add_f32_e32 v14, v15, v16
	v_add_f32_e32 v13, v13, v17
	v_fmac_f32_e32 v5, -0.5, v12
	v_fma_f32 v14, -0.5, v14, v40
	v_sub_f32_e32 v17, v19, v21
	v_fmamk_f32 v12, v10, 0xbf5db3d7, v5
	v_fmac_f32_e32 v5, 0x3f5db3d7, v10
	v_add_f32_e32 v10, v40, v15
	v_fmamk_f32 v40, v17, 0x3f5db3d7, v14
	v_fmac_f32_e32 v14, 0xbf5db3d7, v17
	v_add_f32_e32 v17, v2, v19
	v_add_f32_e32 v19, v19, v21
	v_fma_f32 v2, -0.5, v19, v2
	v_sub_f32_e32 v15, v15, v16
	v_add_f32_e32 v19, v18, v28
	v_add_f32_e32 v10, v10, v16
	v_fmamk_f32 v16, v15, 0xbf5db3d7, v2
	v_fmac_f32_e32 v2, 0x3f5db3d7, v15
	v_add_f32_e32 v15, v41, v18
	v_fmac_f32_e32 v41, -0.5, v19
	v_sub_f32_e32 v19, v20, v29
	v_add_f32_e32 v17, v17, v21
	v_add_f32_e32 v15, v15, v28
	v_fmamk_f32 v21, v19, 0x3f5db3d7, v41
	v_fmac_f32_e32 v41, 0xbf5db3d7, v19
	v_add_f32_e32 v19, v3, v20
	v_add_f32_e32 v20, v20, v29
	v_sub_f32_e32 v18, v18, v28
	v_add_f32_e32 v28, v30, v32
	v_add_f32_e32 v19, v19, v29
	v_fmac_f32_e32 v3, -0.5, v20
	v_fma_f32 v28, -0.5, v28, v38
	v_sub_f32_e32 v29, v31, v33
	v_fmamk_f32 v20, v18, 0xbf5db3d7, v3
	v_fmac_f32_e32 v3, 0x3f5db3d7, v18
	v_add_f32_e32 v18, v38, v30
	v_fmamk_f32 v38, v29, 0x3f5db3d7, v28
	v_fmac_f32_e32 v28, 0xbf5db3d7, v29
	v_add_f32_e32 v29, v0, v31
	v_add_f32_e32 v49, v29, v33
	;; [unrolled: 1-line block ×3, first 2 shown]
	v_fmac_f32_e32 v36, v75, v66
	v_fma_f32 v0, -0.5, v29, v0
	v_sub_f32_e32 v29, v30, v32
	v_add_f32_e32 v30, v34, v22
	v_fmamk_f32 v50, v29, 0xbf5db3d7, v0
	v_fmac_f32_e32 v0, 0x3f5db3d7, v29
	v_add_f32_e32 v29, v39, v34
	v_fmac_f32_e32 v39, -0.5, v30
	v_sub_f32_e32 v30, v35, v36
	v_fmamk_f32 v31, v30, 0x3f5db3d7, v39
	v_fmac_f32_e32 v39, 0xbf5db3d7, v30
	v_add_f32_e32 v30, v1, v35
	v_add_f32_e32 v51, v30, v36
	;; [unrolled: 1-line block ×4, first 2 shown]
	v_fmac_f32_e32 v1, -0.5, v30
	v_sub_f32_e32 v22, v34, v22
	ds_write2_b32 v63, v37, v45 offset1:17
	ds_write2_b32 v63, v59, v6 offset0:34 offset1:51
	ds_write2_b32 v63, v48, v42 offset0:68 offset1:85
	v_mov_b32_e32 v6, 2
	v_fmamk_f32 v52, v22, 0xbf5db3d7, v1
	v_fmac_f32_e32 v1, 0x3f5db3d7, v22
	v_lshlrev_b32_sdwa v22, v6, v76 dst_sel:DWORD dst_unused:UNUSED_PAD src0_sel:DWORD src1_sel:BYTE_0
	v_add3_u32 v22, 0, v22, v58
	ds_write2_b32 v22, v7, v23 offset0:102 offset1:119
	ds_write_b32 v22, v43 offset:544
	v_lshlrev_b32_sdwa v7, v6, v77 dst_sel:DWORD dst_unused:UNUSED_PAD src0_sel:DWORD src1_sel:BYTE_0
	v_add3_u32 v7, 0, v7, v58
	ds_write2_b32 v7, v10, v40 offset0:153 offset1:170
	ds_write_b32 v7, v14 offset:748
	v_lshlrev_b32_sdwa v10, v6, v78 dst_sel:DWORD dst_unused:UNUSED_PAD src0_sel:DWORD src1_sel:BYTE_0
	v_lshlrev_b32_sdwa v14, v6, v79 dst_sel:DWORD dst_unused:UNUSED_PAD src0_sel:DWORD src1_sel:BYTE_0
	v_add3_u32 v10, 0, v10, v58
	v_add3_u32 v14, 0, v14, v58
	v_lshlrev_b32_sdwa v6, v6, v80 dst_sel:DWORD dst_unused:UNUSED_PAD src0_sel:DWORD src1_sel:BYTE_0
	v_add_f32_e32 v18, v18, v32
	ds_write2_b32 v10, v15, v21 offset0:204 offset1:221
	ds_write_b32 v10, v41 offset:952
	v_add_u32_e32 v15, 0x200, v14
	v_add3_u32 v6, 0, v6, v58
	ds_write2_b32 v15, v18, v38 offset0:127 offset1:144
	ds_write_b32 v14, v28 offset:1156
	v_add_u32_e32 v18, 0x400, v6
	ds_write2_b32 v18, v29, v31 offset0:50 offset1:67
	ds_write_b32 v6, v39 offset:1360
	s_waitcnt lgkmcnt(0)
	s_barrier
	ds_read_b32 v80, v62
	ds_read2_b32 v[58:59], v63 offset0:51 offset1:68
	ds_read2_b32 v[30:31], v63 offset0:85 offset1:102
	;; [unrolled: 1-line block ×10, first 2 shown]
	v_add_f32_e32 v44, v44, v85
	s_waitcnt lgkmcnt(0)
	s_barrier
	ds_write2_b32 v63, v44, v46 offset1:17
	ds_write2_b32 v63, v81, v47 offset0:34 offset1:51
	ds_write2_b32 v63, v11, v4 offset0:68 offset1:85
	ds_write2_b32 v22, v13, v12 offset0:102 offset1:119
	ds_write_b32 v22, v5 offset:544
	ds_write2_b32 v7, v17, v16 offset0:153 offset1:170
	ds_write_b32 v7, v2 offset:748
	ds_write2_b32 v10, v19, v20 offset0:204 offset1:221
	;; [unrolled: 2-line block ×4, first 2 shown]
	ds_write_b32 v6, v1 offset:1360
	s_waitcnt lgkmcnt(0)
	s_barrier
	s_and_saveexec_b64 s[0:1], s[2:3]
	s_cbranch_execz .LBB0_20
; %bb.19:
	v_mul_u32_u24_e32 v0, 6, v8
	v_lshlrev_b32_e32 v44, 3, v0
	global_load_dwordx4 v[0:3], v44, s[4:5] offset:272
	global_load_dwordx4 v[4:7], v44, s[4:5] offset:304
	v_mul_u32_u24_e32 v10, 6, v124
	v_lshlrev_b32_e32 v45, 3, v10
	v_mov_b32_e32 v10, 0xffffff9a
	global_load_dwordx4 v[92:95], v45, s[4:5] offset:272
	global_load_dwordx4 v[96:99], v45, s[4:5] offset:304
	v_mad_u32_u24 v8, v8, 6, v10
	v_lshl_add_u64 v[42:43], v[8:9], 3, s[4:5]
	global_load_dwordx4 v[12:15], v[42:43], off offset:272
	global_load_dwordx4 v[20:23], v[42:43], off offset:304
	global_load_dwordx4 v[8:11], v44, s[4:5] offset:288
	global_load_dwordx4 v[100:103], v45, s[4:5] offset:288
	global_load_dwordx4 v[16:19], v[42:43], off offset:288
	v_readlane_b32 s0, v202, 12
	v_readlane_b32 s1, v202, 13
	;; [unrolled: 1-line block ×3, first 2 shown]
	v_mul_lo_u32 v51, s0, v27
	v_mul_lo_u32 v50, s1, v26
	v_mad_u64_u32 v[46:47], s[0:1], s0, v26, 0
	s_mov_b32 s1, 0xa0a0a0a1
	v_add3_u32 v47, v47, v51, v50
	v_mul_hi_u32 v50, v124, s1
	v_lshrrev_b32_e32 v50, 5, v50
	v_readlane_b32 s6, v202, 2
	v_readlane_b32 s7, v202, 3
	v_mul_lo_u32 v50, v50, 51
	v_sub_u32_e32 v55, v124, v50
	v_lshl_add_u64 v[46:47], v[46:47], 3, s[6:7]
	v_readlane_b32 s18, v202, 4
	v_add_u32_e32 v52, 0x400, v63
	v_lshl_add_u64 v[70:71], v[24:25], 3, v[46:47]
	v_mad_u64_u32 v[24:25], s[2:3], s18, v55, 0
	ds_read2_b32 v[42:43], v63 offset0:85 offset1:102
	ds_read2_b32 v[44:45], v63 offset0:221 offset1:238
	;; [unrolled: 1-line block ×7, first 2 shown]
	v_add_u32_e32 v53, 0x200, v63
	ds_read_b32 v81, v62
	ds_read2_b32 v[62:63], v52 offset0:67 offset1:84
	ds_read2_b32 v[66:67], v52 offset0:33 offset1:50
	;; [unrolled: 1-line block ×3, first 2 shown]
	v_readlane_b32 s19, v202, 5
	v_mov_b32_e32 v46, v25
	v_add_u32_e32 v53, 51, v55
	v_mad_u64_u32 v[46:47], s[2:3], s19, v55, v[46:47]
	v_mad_u64_u32 v[50:51], s[2:3], s18, v53, 0
	v_mov_b32_e32 v25, v46
	v_mov_b32_e32 v52, v51
	v_lshl_add_u64 v[104:105], v[24:25], 3, v[70:71]
	v_mad_u64_u32 v[46:47], s[2:3], s19, v53, v[52:53]
	v_mov_b32_e32 v51, v46
	s_waitcnt lgkmcnt(0)
	v_mov_b32_e32 v134, v90
	v_mov_b32_e32 v135, v78
	;; [unrolled: 1-line block ×4, first 2 shown]
	v_lshl_add_u64 v[106:107], v[50:51], 3, v[70:71]
	v_readlane_b32 s5, v202, 1
	s_mov_b32 s4, 0x3f4a47b2
	s_mov_b32 s10, 0x3eae86e6
	;; [unrolled: 1-line block ×11, first 2 shown]
	v_mov_b32_e32 v78, v91
	s_waitcnt vmcnt(8)
	v_mul_f32_e32 v56, v39, v3
	s_waitcnt vmcnt(7)
	v_mul_f32_e32 v25, v63, v7
	v_fma_f32 v53, v37, v6, -v25
	v_mul_f32_e32 v54, v40, v5
	s_waitcnt vmcnt(4)
	v_mul_f32_e32 v25, v73, v13
	v_fma_f32 v83, v59, v12, -v25
	v_add_u32_e32 v25, 0x66, v55
	v_mul_f32_e32 v46, v72, v93
	v_mul_f32_e32 v47, v67, v99
	v_fmac_f32_e32 v54, v4, v66
	v_fmac_f32_e32 v56, v2, v61
	v_mad_u64_u32 v[120:121], s[2:3], s18, v25, 0
	v_fma_f32 v113, v58, v92, -v46
	v_fma_f32 v115, v41, v98, -v47
	v_add_f32_e32 v47, v56, v54
	v_mov_b32_e32 v46, v121
	v_mad_u64_u32 v[122:123], s[2:3], s19, v25, v[46:47]
	v_add_u32_e32 v25, 0x99, v55
	v_mov_b32_e32 v121, v122
	v_mad_u64_u32 v[122:123], s[2:3], s18, v25, 0
	v_mov_b32_e32 v46, v123
	v_mad_u64_u32 v[126:127], s[2:3], s19, v25, v[46:47]
	v_add_u32_e32 v25, 0xcc, v55
	v_mov_b32_e32 v123, v126
	v_mad_u64_u32 v[126:127], s[2:3], s18, v25, 0
	;; [unrolled: 5-line block ×4, first 2 shown]
	v_mov_b32_e32 v46, v131
	v_mad_u64_u32 v[132:133], s[2:3], s19, v25, v[46:47]
	v_mov_b32_e32 v131, v132
	v_mov_b32_e32 v132, v97
	s_waitcnt vmcnt(1)
	v_mov_b32_e32 v133, v100
	v_mul_f32_e32 v108, v68, v97
	v_pk_mul_f32 v[132:133], v[132:133], v[134:135]
	v_mov_b32_e32 v134, v68
	v_mov_b32_e32 v135, v64
	;; [unrolled: 1-line block ×3, first 2 shown]
	v_fmac_f32_e32 v108, v96, v90
	v_pk_fma_f32 v[136:137], v[68:69], v[96:97], v[132:133] neg_lo:[0,0,1] neg_hi:[0,0,1]
	v_pk_fma_f32 v[96:97], v[134:135], v[96:97], v[132:133]
	v_mov_b32_e32 v132, v95
	v_mov_b32_e32 v133, v102
	;; [unrolled: 1-line block ×4, first 2 shown]
	v_mul_f32_e32 v110, v31, v95
	v_pk_mul_f32 v[132:133], v[132:133], v[134:135]
	v_mov_b32_e32 v46, v31
	v_mov_b32_e32 v134, v31
	;; [unrolled: 1-line block ×4, first 2 shown]
	v_fmac_f32_e32 v110, v94, v43
	v_pk_fma_f32 v[138:139], v[46:47], v[94:95], v[132:133] neg_lo:[0,0,1] neg_hi:[0,0,1]
	v_pk_fma_f32 v[94:95], v[134:135], v[94:95], v[132:133]
	v_mov_b32_e32 v134, v101
	v_mov_b32_e32 v135, v98
	v_pk_mul_f32 v[134:135], v[134:135], v[140:141]
	v_mov_b32_e32 v140, v64
	v_mov_b32_e32 v141, v41
	;; [unrolled: 1-line block ×3, first 2 shown]
	v_pk_fma_f32 v[98:99], v[64:65], v[100:101], v[134:135] neg_lo:[0,0,1] neg_hi:[0,0,1]
	v_pk_fma_f32 v[100:101], v[140:141], v[100:101], v[134:135]
	v_mov_b32_e32 v134, v103
	v_mov_b32_e32 v135, v92
	;; [unrolled: 1-line block ×4, first 2 shown]
	v_pk_mul_f32 v[134:135], v[134:135], v[140:141]
	v_mov_b32_e32 v140, v33
	v_mov_b32_e32 v141, v58
	;; [unrolled: 1-line block ×3, first 2 shown]
	v_mul_f32_e32 v24, v42, v1
	v_mov_b32_e32 v137, v97
	v_mov_b32_e32 v139, v95
	v_pk_fma_f32 v[92:93], v[140:141], v[102:103], v[134:135] neg_lo:[0,0,1] neg_hi:[0,0,1]
	v_pk_fma_f32 v[102:103], v[140:141], v[102:103], v[134:135]
	v_fma_f32 v51, v30, v0, -v24
	v_pk_add_f32 v[132:133], v[138:139], v[136:137] neg_lo:[0,1] neg_hi:[0,1]
	v_mov_b32_e32 v99, v101
	v_mov_b32_e32 v93, v103
	;; [unrolled: 1-line block ×4, first 2 shown]
	v_add_f32_e32 v24, v51, v53
	v_pk_add_f32 v[134:135], v[92:93], v[98:99]
	v_mov_b32_e32 v92, v101
	v_mov_b32_e32 v93, v98
	v_pk_add_f32 v[98:99], v[110:111], v[108:109] neg_lo:[0,1] neg_hi:[0,1]
	v_mov_b32_e32 v46, v103
	v_mov_b32_e32 v25, v132
	;; [unrolled: 1-line block ×4, first 2 shown]
	v_add_f32_e32 v117, v110, v108
	v_add_f32_e32 v118, v113, v115
	v_pk_add_f32 v[136:137], v[138:139], v[136:137]
	v_pk_add_f32 v[92:93], v[46:47], v[92:93] neg_lo:[0,1] neg_hi:[0,1]
	v_pk_add_f32 v[100:101], v[98:99], v[24:25]
	v_pk_add_f32 v[94:95], v[112:113], v[114:115] neg_lo:[0,1] neg_hi:[0,1]
	v_add_f32_e32 v141, v135, v117
	v_mov_b32_e32 v119, v137
	v_mov_b32_e32 v116, v134
	v_add_f32_e32 v146, v118, v136
	v_mov_b32_e32 v147, v137
	v_mov_b32_e32 v140, v134
	;; [unrolled: 1-line block ×7, first 2 shown]
	v_pk_add_f32 v[138:139], v[118:119], v[116:117] neg_lo:[0,1] neg_hi:[0,1]
	v_pk_add_f32 v[140:141], v[146:147], v[140:141]
	v_pk_add_f32 v[96:97], v[96:97], v[100:101] neg_lo:[0,1] neg_hi:[0,1]
	v_pk_add_f32 v[108:109], v[94:95], v[98:99]
	v_pk_mul_f32 v[138:139], v[138:139], s[4:5]
	v_pk_add_f32 v[142:143], v[134:135], v[136:137] neg_lo:[0,1] neg_hi:[0,1]
	v_pk_add_f32 v[80:81], v[80:81], v[140:141]
	v_pk_mul_f32 v[96:97], v[96:97], s[10:11]
	v_pk_add_f32 v[100:101], v[94:95], v[98:99] neg_lo:[0,1] neg_hi:[0,1]
	v_mov_b32_e32 v109, v95
	v_pk_mul_f32 v[144:145], v[142:143], s[6:7]
	v_pk_fma_f32 v[142:143], v[142:143], s[6:7], v[138:139]
	v_pk_fma_f32 v[140:141], v[140:141], s[8:9], v[80:81] op_sel_hi:[1,0,1] neg_lo:[1,0,0] neg_hi:[1,0,0]
	v_pk_mul_f32 v[102:103], v[100:101], s[14:15]
	v_pk_fma_f32 v[100:101], v[100:101], s[14:15], v[96:97]
	v_pk_add_f32 v[108:109], v[108:109], v[92:93]
	v_pk_add_f32 v[142:143], v[142:143], v[140:141]
	v_pk_fma_f32 v[100:101], v[108:109], s[0:1], v[100:101] op_sel_hi:[1,0,1]
	global_store_dwordx2 v[104:105], v[80:81], off
	v_pk_add_f32 v[110:111], v[142:143], v[100:101] neg_lo:[0,1] neg_hi:[0,1]
	v_pk_add_f32 v[100:101], v[142:143], v[100:101]
	v_mov_b32_e32 v81, v111
	v_mov_b32_e32 v80, v100
	;; [unrolled: 1-line block ×6, first 2 shown]
	global_store_dwordx2 v[106:107], v[80:81], off
	v_mov_b32_e32 v80, v138
	v_mov_b32_e32 v81, v145
	v_pk_add_f32 v[104:105], v[136:137], v[118:119] neg_lo:[0,1] neg_hi:[0,1]
	s_mov_b32 s2, 0x3f3bfb3b
	v_pk_add_f32 v[92:93], v[98:99], v[92:93] neg_lo:[0,1] neg_hi:[0,1]
	v_mov_b32_e32 v94, v96
	v_mov_b32_e32 v95, v103
	v_pk_fma_f32 v[80:81], v[104:105], s[2:3], v[80:81] op_sel_hi:[1,0,1] neg_lo:[1,0,1] neg_hi:[1,0,1]
	v_pk_fma_f32 v[94:95], v[92:93], s[12:13], v[94:95] op_sel_hi:[1,0,1] neg_lo:[1,0,1] neg_hi:[1,0,1]
	v_pk_add_f32 v[80:81], v[80:81], v[140:141]
	v_pk_fma_f32 v[94:95], v[108:109], s[0:1], v[94:95] op_sel_hi:[1,0,1]
	v_add_u32_e32 v25, 17, v124
	v_pk_add_f32 v[98:99], v[80:81], v[94:95] neg_lo:[0,1] neg_hi:[0,1]
	v_pk_add_f32 v[80:81], v[80:81], v[94:95]
	v_mul_hi_u32 v31, v25, s1
	v_lshl_add_u64 v[120:121], v[120:121], 3, v[70:71]
	v_mov_b32_e32 v94, v80
	v_mov_b32_e32 v95, v99
	;; [unrolled: 1-line block ×4, first 2 shown]
	v_lshrrev_b32_e32 v31, 5, v31
	global_store_dwordx2 v[120:121], v[94:95], off
	v_pk_fma_f32 v[92:93], v[92:93], s[12:13], v[102:103] op_sel_hi:[1,0,1] neg_lo:[0,0,1] neg_hi:[0,0,1]
	v_pk_fma_f32 v[94:95], v[104:105], s[2:3], v[144:145] op_sel_hi:[1,0,1] neg_lo:[0,0,1] neg_hi:[0,0,1]
	v_mul_lo_u32 v33, v31, 51
	v_pk_fma_f32 v[92:93], v[108:109], s[0:1], v[92:93] op_sel_hi:[1,0,1]
	v_pk_add_f32 v[94:95], v[94:95], v[140:141]
	v_sub_u32_e32 v46, v25, v33
	s_movk_i32 s3, 0x165
	v_pk_add_f32 v[96:97], v[94:95], v[92:93]
	v_pk_add_f32 v[92:93], v[94:95], v[92:93] neg_lo:[0,1] neg_hi:[0,1]
	v_mov_b32_e32 v99, v81
	v_mad_u64_u32 v[80:81], s[16:17], v31, s3, v[46:47]
	v_mov_b32_e32 v94, v92
	v_mov_b32_e32 v95, v97
	;; [unrolled: 1-line block ×3, first 2 shown]
	v_mad_u64_u32 v[92:93], s[16:17], s18, v80, 0
	v_lshl_add_u64 v[122:123], v[122:123], 3, v[70:71]
	v_mov_b32_e32 v46, v93
	global_store_dwordx2 v[122:123], v[94:95], off
	v_mad_u64_u32 v[94:95], s[16:17], s19, v80, v[46:47]
	v_add_u32_e32 v25, 51, v80
	v_mov_b32_e32 v93, v94
	v_mad_u64_u32 v[94:95], s[16:17], s18, v25, 0
	v_lshl_add_u64 v[126:127], v[126:127], 3, v[70:71]
	v_mov_b32_e32 v46, v95
	global_store_dwordx2 v[126:127], v[96:97], off
	v_mad_u64_u32 v[96:97], s[16:17], s19, v25, v[46:47]
	v_add_u32_e32 v25, 0x66, v80
	v_mov_b32_e32 v95, v96
	;; [unrolled: 7-line block ×3, first 2 shown]
	v_mad_u64_u32 v[98:99], s[16:17], s18, v25, 0
	v_mov_b32_e32 v46, v99
	v_mov_b32_e32 v111, v101
	v_mad_u64_u32 v[100:101], s[16:17], s19, v25, v[46:47]
	v_add_u32_e32 v25, 0xcc, v80
	v_mov_b32_e32 v99, v100
	v_mad_u64_u32 v[100:101], s[16:17], s18, v25, 0
	v_mov_b32_e32 v46, v101
	v_mad_u64_u32 v[102:103], s[16:17], s19, v25, v[46:47]
	v_add_u32_e32 v25, 0xff, v80
	v_mov_b32_e32 v101, v102
	v_mad_u64_u32 v[102:103], s[16:17], s18, v25, 0
	v_mov_b32_e32 v46, v103
	v_mad_u64_u32 v[104:105], s[16:17], s19, v25, v[46:47]
	v_add_u32_e32 v25, 0x132, v80
	v_mad_u64_u32 v[80:81], s[16:17], s18, v25, 0
	v_mov_b32_e32 v46, v81
	v_mov_b32_e32 v103, v104
	v_mad_u64_u32 v[104:105], s[16:17], s19, v25, v[46:47]
	v_mul_f32_e32 v86, v69, v21
	v_mov_b32_e32 v81, v104
	v_mov_b32_e32 v104, v21
	s_waitcnt vmcnt(6)
	v_mov_b32_e32 v105, v16
	v_fmac_f32_e32 v86, v20, v91
	v_pk_mul_f32 v[90:91], v[104:105], v[78:79]
	v_mov_b32_e32 v46, v69
	v_mov_b32_e32 v64, v69
	;; [unrolled: 1-line block ×3, first 2 shown]
	v_pk_fma_f32 v[68:69], v[46:47], v[20:21], v[90:91] neg_lo:[0,0,1] neg_hi:[0,0,1]
	v_pk_fma_f32 v[20:21], v[64:65], v[20:21], v[90:91]
	v_mov_b32_e32 v90, v15
	v_mov_b32_e32 v91, v18
	;; [unrolled: 1-line block ×4, first 2 shown]
	v_mul_f32_e32 v88, v38, v15
	v_pk_mul_f32 v[90:91], v[90:91], v[104:105]
	v_mov_b32_e32 v104, v38
	v_mov_b32_e32 v105, v34
	;; [unrolled: 1-line block ×3, first 2 shown]
	v_fmac_f32_e32 v88, v14, v60
	v_pk_fma_f32 v[106:107], v[38:39], v[14:15], v[90:91] neg_lo:[0,0,1] neg_hi:[0,0,1]
	v_pk_fma_f32 v[14:15], v[104:105], v[14:15], v[90:91]
	v_mov_b32_e32 v104, v17
	v_mov_b32_e32 v105, v22
	;; [unrolled: 1-line block ×4, first 2 shown]
	v_mul_f32_e32 v50, v62, v23
	v_pk_mul_f32 v[78:79], v[104:105], v[78:79]
	v_mov_b32_e32 v14, v65
	v_mov_b32_e32 v64, v65
	;; [unrolled: 1-line block ×4, first 2 shown]
	v_fma_f32 v85, v36, v22, -v50
	v_pk_fma_f32 v[22:23], v[14:15], v[16:17], v[78:79] neg_lo:[0,0,1] neg_hi:[0,0,1]
	v_pk_fma_f32 v[16:17], v[64:65], v[16:17], v[78:79]
	v_mov_b32_e32 v64, v19
	v_mov_b32_e32 v65, v12
	;; [unrolled: 1-line block ×3, first 2 shown]
	v_pk_mul_f32 v[64:65], v[64:65], v[72:73]
	v_mov_b32_e32 v58, v34
	v_mov_b32_e32 v19, v13
	;; [unrolled: 1-line block ×4, first 2 shown]
	v_pk_fma_f32 v[12:13], v[58:59], v[18:19], v[64:65] neg_lo:[0,0,1] neg_hi:[0,0,1]
	v_pk_fma_f32 v[18:19], v[58:59], v[18:19], v[64:65]
	v_pk_add_f32 v[90:91], v[106:107], v[68:69] neg_lo:[0,1] neg_hi:[0,1]
	v_mov_b32_e32 v23, v17
	v_mov_b32_e32 v13, v19
	;; [unrolled: 1-line block ×4, first 2 shown]
	v_pk_add_f32 v[58:59], v[12:13], v[22:23]
	v_mov_b32_e32 v12, v17
	v_mov_b32_e32 v13, v22
	v_pk_add_f32 v[16:17], v[88:89], v[86:87] neg_lo:[0,1] neg_hi:[0,1]
	v_mov_b32_e32 v14, v19
	v_mov_b32_e32 v19, v90
	;; [unrolled: 1-line block ×4, first 2 shown]
	v_add_f32_e32 v77, v88, v86
	v_add_f32_e32 v74, v83, v85
	v_pk_add_f32 v[68:69], v[106:107], v[68:69]
	v_pk_add_f32 v[12:13], v[14:15], v[12:13] neg_lo:[0,1] neg_hi:[0,1]
	v_pk_add_f32 v[18:19], v[16:17], v[18:19]
	v_pk_add_f32 v[14:15], v[82:83], v[84:85] neg_lo:[0,1] neg_hi:[0,1]
	v_add_f32_e32 v65, v59, v77
	v_mov_b32_e32 v75, v69
	v_mov_b32_e32 v76, v58
	v_add_f32_e32 v106, v74, v68
	v_mov_b32_e32 v107, v69
	v_mov_b32_e32 v64, v58
	;; [unrolled: 1-line block ×7, first 2 shown]
	v_pk_add_f32 v[72:73], v[74:75], v[76:77] neg_lo:[0,1] neg_hi:[0,1]
	v_pk_add_f32 v[64:65], v[106:107], v[64:65]
	v_mov_b32_e32 v106, v28
	v_mov_b32_e32 v107, v26
	v_pk_add_f32 v[18:19], v[18:19], v[20:21] neg_lo:[0,1] neg_hi:[0,1]
	v_pk_add_f32 v[82:83], v[14:15], v[16:17]
	v_pk_mul_f32 v[72:73], v[72:73], s[4:5]
	v_pk_add_f32 v[78:79], v[58:59], v[68:69] neg_lo:[0,1] neg_hi:[0,1]
	v_pk_add_f32 v[106:107], v[106:107], v[64:65]
	v_pk_mul_f32 v[18:19], v[18:19], s[10:11]
	v_pk_add_f32 v[20:21], v[14:15], v[16:17] neg_lo:[0,1] neg_hi:[0,1]
	v_mov_b32_e32 v83, v15
	v_pk_mul_f32 v[104:105], v[78:79], s[6:7]
	v_pk_fma_f32 v[78:79], v[78:79], s[6:7], v[72:73]
	v_pk_fma_f32 v[64:65], v[64:65], s[8:9], v[106:107] op_sel_hi:[1,0,1] neg_lo:[1,0,0] neg_hi:[1,0,0]
	v_pk_mul_f32 v[22:23], v[20:21], s[14:15]
	v_pk_fma_f32 v[20:21], v[20:21], s[14:15], v[18:19]
	v_pk_add_f32 v[82:83], v[82:83], v[12:13]
	v_pk_add_f32 v[78:79], v[78:79], v[64:65]
	v_pk_fma_f32 v[20:21], v[82:83], s[0:1], v[20:21] op_sel_hi:[1,0,1]
	v_lshl_add_u64 v[130:131], v[130:131], 3, v[70:71]
	v_pk_add_f32 v[84:85], v[78:79], v[20:21] neg_lo:[0,1] neg_hi:[0,1]
	v_pk_add_f32 v[20:21], v[78:79], v[20:21]
	v_lshl_add_u64 v[92:93], v[92:93], 3, v[70:71]
	v_lshl_add_u64 v[94:95], v[94:95], 3, v[70:71]
	v_mov_b32_e32 v78, v20
	v_mov_b32_e32 v79, v85
	;; [unrolled: 1-line block ×6, first 2 shown]
	global_store_dwordx2 v[130:131], v[110:111], off
	global_store_dwordx2 v[92:93], v[106:107], off
	;; [unrolled: 1-line block ×3, first 2 shown]
	v_mov_b32_e32 v79, v105
	v_pk_add_f32 v[58:59], v[68:69], v[74:75] neg_lo:[0,1] neg_hi:[0,1]
	v_pk_add_f32 v[12:13], v[16:17], v[12:13] neg_lo:[0,1] neg_hi:[0,1]
	v_mov_b32_e32 v14, v18
	v_mov_b32_e32 v15, v23
	;; [unrolled: 1-line block ×4, first 2 shown]
	v_pk_fma_f32 v[14:15], v[12:13], s[12:13], v[14:15] op_sel_hi:[1,0,1] neg_lo:[1,0,1] neg_hi:[1,0,1]
	v_pk_fma_f32 v[12:13], v[12:13], s[12:13], v[22:23] op_sel_hi:[1,0,1] neg_lo:[0,0,1] neg_hi:[0,0,1]
	;; [unrolled: 1-line block ×3, first 2 shown]
	v_pk_fma_f32 v[12:13], v[82:83], s[0:1], v[12:13] op_sel_hi:[1,0,1]
	v_pk_add_f32 v[18:19], v[18:19], v[64:65]
	v_mov_b32_e32 v78, v72
	v_pk_add_f32 v[22:23], v[18:19], v[12:13]
	v_pk_add_f32 v[12:13], v[18:19], v[12:13] neg_lo:[0,1] neg_hi:[0,1]
	v_pk_fma_f32 v[68:69], v[58:59], s[2:3], v[78:79] op_sel_hi:[1,0,1] neg_lo:[1,0,1] neg_hi:[1,0,1]
	v_mov_b32_e32 v18, v12
	v_add_u32_e32 v12, 34, v124
	v_pk_add_f32 v[68:69], v[68:69], v[64:65]
	v_pk_fma_f32 v[14:15], v[82:83], s[0:1], v[14:15] op_sel_hi:[1,0,1]
	v_mov_b32_e32 v19, v23
	v_mov_b32_e32 v23, v13
	v_mul_hi_u32 v13, v12, s1
	v_pk_add_f32 v[16:17], v[68:69], v[14:15] neg_lo:[0,1] neg_hi:[0,1]
	v_pk_add_f32 v[14:15], v[68:69], v[14:15]
	v_lshrrev_b32_e32 v13, 5, v13
	v_mov_b32_e32 v68, v14
	v_mul_lo_u32 v14, v13, 51
	v_sub_u32_e32 v12, v12, v14
	v_mad_u64_u32 v[12:13], s[16:17], v13, s3, v[12:13]
	v_lshl_add_u64 v[96:97], v[96:97], 3, v[70:71]
	v_lshl_add_u64 v[98:99], v[98:99], 3, v[70:71]
	;; [unrolled: 1-line block ×4, first 2 shown]
	v_mov_b32_e32 v69, v17
	v_mov_b32_e32 v17, v15
	v_mad_u64_u32 v[14:15], s[16:17], s18, v12, 0
	global_store_dwordx2 v[96:97], v[68:69], off
	global_store_dwordx2 v[98:99], v[18:19], off
	;; [unrolled: 1-line block ×4, first 2 shown]
	v_mov_b32_e32 v16, v15
	v_mad_u64_u32 v[16:17], s[16:17], s19, v12, v[16:17]
	v_add_u32_e32 v13, 51, v12
	v_mov_b32_e32 v15, v16
	v_mad_u64_u32 v[16:17], s[16:17], s18, v13, 0
	v_mov_b32_e32 v18, v17
	v_mad_u64_u32 v[18:19], s[16:17], s19, v13, v[18:19]
	v_add_u32_e32 v13, 0x66, v12
	v_mov_b32_e32 v17, v18
	v_mad_u64_u32 v[18:19], s[16:17], s18, v13, 0
	v_mov_b32_e32 v20, v19
	v_mov_b32_e32 v85, v21
	v_mad_u64_u32 v[20:21], s[16:17], s19, v13, v[20:21]
	v_add_u32_e32 v13, 0x99, v12
	v_mov_b32_e32 v19, v20
	v_mad_u64_u32 v[20:21], s[16:17], s18, v13, 0
	v_mov_b32_e32 v22, v21
	v_mad_u64_u32 v[22:23], s[16:17], s19, v13, v[22:23]
	v_add_u32_e32 v13, 0xcc, v12
	v_mov_b32_e32 v21, v22
	v_mad_u64_u32 v[22:23], s[16:17], s18, v13, 0
	;; [unrolled: 5-line block ×3, first 2 shown]
	v_mov_b32_e32 v26, v59
	v_add_u32_e32 v25, 0x132, v12
	v_mad_u64_u32 v[64:65], s[16:17], s19, v13, v[26:27]
	v_mad_u64_u32 v[12:13], s[16:17], s18, v25, 0
	v_mov_b32_e32 v26, v13
	v_mov_b32_e32 v59, v64
	v_mad_u64_u32 v[64:65], s[16:17], s19, v25, v[26:27]
	v_mov_b32_e32 v13, v64
	v_mov_b32_e32 v64, v5
	;; [unrolled: 1-line block ×4, first 2 shown]
	v_pk_mul_f32 v[64:65], v[64:65], v[66:67]
	v_mov_b32_e32 v41, v32
	v_mov_b32_e32 v5, v9
	;; [unrolled: 1-line block ×6, first 2 shown]
	v_pk_fma_f32 v[66:67], v[40:41], v[4:5], v[64:65] neg_lo:[0,0,1] neg_hi:[0,0,1]
	v_pk_fma_f32 v[4:5], v[40:41], v[4:5], v[64:65]
	v_mov_b32_e32 v40, v3
	v_mov_b32_e32 v41, v10
	v_pk_mul_f32 v[48:49], v[60:61], v[48:49]
	v_mov_b32_e32 v33, v37
	v_mov_b32_e32 v9, v7
	v_pk_mul_f32 v[40:41], v[40:41], v[44:45]
	v_mov_b32_e32 v4, v39
	v_mov_b32_e32 v34, v39
	;; [unrolled: 1-line block ×3, first 2 shown]
	v_pk_fma_f32 v[6:7], v[32:33], v[8:9], v[48:49] neg_lo:[0,0,1] neg_hi:[0,0,1]
	v_pk_fma_f32 v[8:9], v[32:33], v[8:9], v[48:49]
	v_mov_b32_e32 v32, v11
	v_mov_b32_e32 v33, v0
	;; [unrolled: 1-line block ×4, first 2 shown]
	v_pk_fma_f32 v[38:39], v[4:5], v[2:3], v[40:41] neg_lo:[0,0,1] neg_hi:[0,0,1]
	v_pk_fma_f32 v[2:3], v[34:35], v[2:3], v[40:41]
	v_pk_mul_f32 v[32:33], v[32:33], v[36:37]
	v_mov_b32_e32 v34, v35
	v_mov_b32_e32 v35, v30
	;; [unrolled: 1-line block ×3, first 2 shown]
	v_pk_fma_f32 v[0:1], v[34:35], v[10:11], v[32:33] neg_lo:[0,0,1] neg_hi:[0,0,1]
	v_pk_fma_f32 v[10:11], v[34:35], v[10:11], v[32:33]
	v_mov_b32_e32 v67, v5
	v_mov_b32_e32 v39, v3
	;; [unrolled: 1-line block ×4, first 2 shown]
	v_pk_add_f32 v[30:31], v[0:1], v[6:7]
	v_pk_add_f32 v[34:35], v[38:39], v[66:67]
	v_pk_add_f32 v[40:41], v[38:39], v[66:67] neg_lo:[0,1] neg_hi:[0,1]
	v_add_f32_e32 v33, v31, v47
	v_mov_b32_e32 v25, v35
	v_mov_b32_e32 v46, v30
	v_add_f32_e32 v44, v24, v34
	v_mov_b32_e32 v45, v35
	v_mov_b32_e32 v32, v30
	v_mov_b32_e32 v57, v0
	v_mov_b32_e32 v55, v6
	v_pk_add_f32 v[36:37], v[24:25], v[46:47] neg_lo:[0,1] neg_hi:[0,1]
	v_pk_add_f32 v[32:33], v[44:45], v[32:33]
	v_mov_b32_e32 v26, v29
	v_mov_b32_e32 v0, v9
	;; [unrolled: 1-line block ×3, first 2 shown]
	v_pk_add_f32 v[6:7], v[56:57], v[54:55] neg_lo:[0,1] neg_hi:[0,1]
	v_mov_b32_e32 v2, v11
	v_mov_b32_e32 v9, v40
	;; [unrolled: 1-line block ×4, first 2 shown]
	v_pk_mul_f32 v[36:37], v[36:37], s[4:5]
	v_pk_add_f32 v[38:39], v[30:31], v[34:35] neg_lo:[0,1] neg_hi:[0,1]
	v_pk_add_f32 v[26:27], v[26:27], v[32:33]
	v_pk_add_f32 v[0:1], v[2:3], v[0:1] neg_lo:[0,1] neg_hi:[0,1]
	v_pk_add_f32 v[8:9], v[6:7], v[8:9]
	v_pk_add_f32 v[2:3], v[50:51], v[52:53] neg_lo:[0,1] neg_hi:[0,1]
	v_pk_mul_f32 v[42:43], v[38:39], s[6:7]
	v_pk_fma_f32 v[38:39], v[38:39], s[6:7], v[36:37]
	v_pk_fma_f32 v[28:29], v[32:33], s[8:9], v[26:27] op_sel_hi:[1,0,1] neg_lo:[1,0,0] neg_hi:[1,0,0]
	v_mov_b32_e32 v1, v9
	v_mov_b32_e32 v4, v0
	;; [unrolled: 1-line block ×5, first 2 shown]
	v_pk_add_f32 v[32:33], v[38:39], v[28:29]
	v_pk_add_f32 v[4:5], v[4:5], v[8:9] neg_lo:[0,1] neg_hi:[0,1]
	v_pk_add_f32 v[38:39], v[2:3], v[6:7]
	v_pk_mul_f32 v[4:5], v[4:5], s[10:11]
	v_pk_add_f32 v[8:9], v[2:3], v[6:7] neg_lo:[0,1] neg_hi:[0,1]
	v_mov_b32_e32 v39, v3
	v_pk_mul_f32 v[10:11], v[8:9], s[14:15]
	v_pk_fma_f32 v[8:9], v[8:9], s[14:15], v[4:5]
	v_pk_add_f32 v[38:39], v[38:39], v[0:1]
	v_lshl_add_u64 v[80:81], v[80:81], 3, v[70:71]
	v_pk_fma_f32 v[8:9], v[38:39], s[0:1], v[8:9] op_sel_hi:[1,0,1]
	v_lshl_add_u64 v[14:15], v[14:15], 3, v[70:71]
	v_pk_add_f32 v[44:45], v[32:33], v[8:9] neg_lo:[0,1] neg_hi:[0,1]
	v_pk_add_f32 v[8:9], v[32:33], v[8:9]
	global_store_dwordx2 v[80:81], v[84:85], off
	v_lshl_add_u64 v[16:17], v[16:17], 3, v[70:71]
	global_store_dwordx2 v[14:15], v[26:27], off
	v_mov_b32_e32 v14, v8
	v_mov_b32_e32 v15, v45
	;; [unrolled: 1-line block ×6, first 2 shown]
	global_store_dwordx2 v[16:17], v[14:15], off
	v_mov_b32_e32 v14, v36
	v_mov_b32_e32 v15, v43
	v_pk_add_f32 v[16:17], v[34:35], v[24:25] neg_lo:[0,1] neg_hi:[0,1]
	v_pk_add_f32 v[0:1], v[6:7], v[0:1] neg_lo:[0,1] neg_hi:[0,1]
	v_mov_b32_e32 v2, v4
	v_mov_b32_e32 v3, v11
	;; [unrolled: 1-line block ×4, first 2 shown]
	v_pk_fma_f32 v[14:15], v[16:17], s[2:3], v[14:15] op_sel_hi:[1,0,1] neg_lo:[1,0,1] neg_hi:[1,0,1]
	v_pk_fma_f32 v[2:3], v[0:1], s[12:13], v[2:3] op_sel_hi:[1,0,1] neg_lo:[1,0,1] neg_hi:[1,0,1]
	;; [unrolled: 1-line block ×4, first 2 shown]
	v_pk_add_f32 v[14:15], v[14:15], v[28:29]
	v_pk_fma_f32 v[2:3], v[38:39], s[0:1], v[2:3] op_sel_hi:[1,0,1]
	v_pk_fma_f32 v[0:1], v[38:39], s[0:1], v[0:1] op_sel_hi:[1,0,1]
	v_pk_add_f32 v[4:5], v[4:5], v[28:29]
	v_pk_add_f32 v[6:7], v[14:15], v[2:3] neg_lo:[0,1] neg_hi:[0,1]
	v_pk_add_f32 v[2:3], v[14:15], v[2:3]
	v_pk_add_f32 v[10:11], v[4:5], v[0:1]
	v_pk_add_f32 v[0:1], v[4:5], v[0:1] neg_lo:[0,1] neg_hi:[0,1]
	v_lshl_add_u64 v[18:19], v[18:19], 3, v[70:71]
	v_lshl_add_u64 v[20:21], v[20:21], 3, v[70:71]
	;; [unrolled: 1-line block ×5, first 2 shown]
	v_mov_b32_e32 v14, v2
	v_mov_b32_e32 v15, v7
	;; [unrolled: 1-line block ×7, first 2 shown]
	global_store_dwordx2 v[18:19], v[14:15], off
	global_store_dwordx2 v[20:21], v[4:5], off
	;; [unrolled: 1-line block ×5, first 2 shown]
.LBB0_20:
	s_endpgm
	.section	.rodata,"a",@progbits
	.p2align	6, 0x0
	.amdhsa_kernel fft_rtc_fwd_len357_factors_17_3_7_wgs_187_tpt_17_halfLds_sp_op_CI_CI_sbrr_dirReg
		.amdhsa_group_segment_fixed_size 0
		.amdhsa_private_segment_fixed_size 0
		.amdhsa_kernarg_size 104
		.amdhsa_user_sgpr_count 2
		.amdhsa_user_sgpr_dispatch_ptr 0
		.amdhsa_user_sgpr_queue_ptr 0
		.amdhsa_user_sgpr_kernarg_segment_ptr 1
		.amdhsa_user_sgpr_dispatch_id 0
		.amdhsa_user_sgpr_kernarg_preload_length 0
		.amdhsa_user_sgpr_kernarg_preload_offset 0
		.amdhsa_user_sgpr_private_segment_size 0
		.amdhsa_uses_dynamic_stack 0
		.amdhsa_enable_private_segment 0
		.amdhsa_system_sgpr_workgroup_id_x 1
		.amdhsa_system_sgpr_workgroup_id_y 0
		.amdhsa_system_sgpr_workgroup_id_z 0
		.amdhsa_system_sgpr_workgroup_info 0
		.amdhsa_system_vgpr_workitem_id 0
		.amdhsa_next_free_vgpr 203
		.amdhsa_next_free_sgpr 100
		.amdhsa_accum_offset 204
		.amdhsa_reserve_vcc 1
		.amdhsa_float_round_mode_32 0
		.amdhsa_float_round_mode_16_64 0
		.amdhsa_float_denorm_mode_32 3
		.amdhsa_float_denorm_mode_16_64 3
		.amdhsa_dx10_clamp 1
		.amdhsa_ieee_mode 1
		.amdhsa_fp16_overflow 0
		.amdhsa_tg_split 0
		.amdhsa_exception_fp_ieee_invalid_op 0
		.amdhsa_exception_fp_denorm_src 0
		.amdhsa_exception_fp_ieee_div_zero 0
		.amdhsa_exception_fp_ieee_overflow 0
		.amdhsa_exception_fp_ieee_underflow 0
		.amdhsa_exception_fp_ieee_inexact 0
		.amdhsa_exception_int_div_zero 0
	.end_amdhsa_kernel
	.text
.Lfunc_end0:
	.size	fft_rtc_fwd_len357_factors_17_3_7_wgs_187_tpt_17_halfLds_sp_op_CI_CI_sbrr_dirReg, .Lfunc_end0-fft_rtc_fwd_len357_factors_17_3_7_wgs_187_tpt_17_halfLds_sp_op_CI_CI_sbrr_dirReg
                                        ; -- End function
	.section	.AMDGPU.csdata,"",@progbits
; Kernel info:
; codeLenInByte = 18276
; NumSgprs: 106
; NumVgprs: 203
; NumAgprs: 0
; TotalNumVgprs: 203
; ScratchSize: 0
; MemoryBound: 0
; FloatMode: 240
; IeeeMode: 1
; LDSByteSize: 0 bytes/workgroup (compile time only)
; SGPRBlocks: 13
; VGPRBlocks: 25
; NumSGPRsForWavesPerEU: 106
; NumVGPRsForWavesPerEU: 203
; AccumOffset: 204
; Occupancy: 2
; WaveLimiterHint : 1
; COMPUTE_PGM_RSRC2:SCRATCH_EN: 0
; COMPUTE_PGM_RSRC2:USER_SGPR: 2
; COMPUTE_PGM_RSRC2:TRAP_HANDLER: 0
; COMPUTE_PGM_RSRC2:TGID_X_EN: 1
; COMPUTE_PGM_RSRC2:TGID_Y_EN: 0
; COMPUTE_PGM_RSRC2:TGID_Z_EN: 0
; COMPUTE_PGM_RSRC2:TIDIG_COMP_CNT: 0
; COMPUTE_PGM_RSRC3_GFX90A:ACCUM_OFFSET: 50
; COMPUTE_PGM_RSRC3_GFX90A:TG_SPLIT: 0
	.text
	.p2alignl 6, 3212836864
	.fill 256, 4, 3212836864
	.type	__hip_cuid_d547803829592f07,@object ; @__hip_cuid_d547803829592f07
	.section	.bss,"aw",@nobits
	.globl	__hip_cuid_d547803829592f07
__hip_cuid_d547803829592f07:
	.byte	0                               ; 0x0
	.size	__hip_cuid_d547803829592f07, 1

	.ident	"AMD clang version 19.0.0git (https://github.com/RadeonOpenCompute/llvm-project roc-6.4.0 25133 c7fe45cf4b819c5991fe208aaa96edf142730f1d)"
	.section	".note.GNU-stack","",@progbits
	.addrsig
	.addrsig_sym __hip_cuid_d547803829592f07
	.amdgpu_metadata
---
amdhsa.kernels:
  - .agpr_count:     0
    .args:
      - .actual_access:  read_only
        .address_space:  global
        .offset:         0
        .size:           8
        .value_kind:     global_buffer
      - .offset:         8
        .size:           8
        .value_kind:     by_value
      - .actual_access:  read_only
        .address_space:  global
        .offset:         16
        .size:           8
        .value_kind:     global_buffer
      - .actual_access:  read_only
        .address_space:  global
        .offset:         24
        .size:           8
        .value_kind:     global_buffer
      - .actual_access:  read_only
        .address_space:  global
        .offset:         32
        .size:           8
        .value_kind:     global_buffer
      - .offset:         40
        .size:           8
        .value_kind:     by_value
      - .actual_access:  read_only
        .address_space:  global
        .offset:         48
        .size:           8
        .value_kind:     global_buffer
      - .actual_access:  read_only
        .address_space:  global
        .offset:         56
        .size:           8
        .value_kind:     global_buffer
      - .offset:         64
        .size:           4
        .value_kind:     by_value
      - .actual_access:  read_only
        .address_space:  global
        .offset:         72
        .size:           8
        .value_kind:     global_buffer
      - .actual_access:  read_only
        .address_space:  global
        .offset:         80
        .size:           8
        .value_kind:     global_buffer
      - .actual_access:  read_only
        .address_space:  global
        .offset:         88
        .size:           8
        .value_kind:     global_buffer
      - .actual_access:  write_only
        .address_space:  global
        .offset:         96
        .size:           8
        .value_kind:     global_buffer
    .group_segment_fixed_size: 0
    .kernarg_segment_align: 8
    .kernarg_segment_size: 104
    .language:       OpenCL C
    .language_version:
      - 2
      - 0
    .max_flat_workgroup_size: 187
    .name:           fft_rtc_fwd_len357_factors_17_3_7_wgs_187_tpt_17_halfLds_sp_op_CI_CI_sbrr_dirReg
    .private_segment_fixed_size: 0
    .sgpr_count:     106
    .sgpr_spill_count: 30
    .symbol:         fft_rtc_fwd_len357_factors_17_3_7_wgs_187_tpt_17_halfLds_sp_op_CI_CI_sbrr_dirReg.kd
    .uniform_work_group_size: 1
    .uses_dynamic_stack: false
    .vgpr_count:     203
    .vgpr_spill_count: 0
    .wavefront_size: 64
amdhsa.target:   amdgcn-amd-amdhsa--gfx950
amdhsa.version:
  - 1
  - 2
...

	.end_amdgpu_metadata
